;; amdgpu-corpus repo=ROCm/rocFFT kind=compiled arch=gfx1100 opt=O3
	.text
	.amdgcn_target "amdgcn-amd-amdhsa--gfx1100"
	.amdhsa_code_object_version 6
	.protected	fft_rtc_fwd_len150_factors_10_5_3_wgs_60_tpt_5_halfLds_dp_ip_CI_sbrr_dirReg ; -- Begin function fft_rtc_fwd_len150_factors_10_5_3_wgs_60_tpt_5_halfLds_dp_ip_CI_sbrr_dirReg
	.globl	fft_rtc_fwd_len150_factors_10_5_3_wgs_60_tpt_5_halfLds_dp_ip_CI_sbrr_dirReg
	.p2align	8
	.type	fft_rtc_fwd_len150_factors_10_5_3_wgs_60_tpt_5_halfLds_dp_ip_CI_sbrr_dirReg,@function
fft_rtc_fwd_len150_factors_10_5_3_wgs_60_tpt_5_halfLds_dp_ip_CI_sbrr_dirReg: ; @fft_rtc_fwd_len150_factors_10_5_3_wgs_60_tpt_5_halfLds_dp_ip_CI_sbrr_dirReg
; %bb.0:
	s_clause 0x1
	s_load_b64 s[12:13], s[0:1], 0x18
	s_load_b128 s[4:7], s[0:1], 0x0
	v_mul_u32_u24_e32 v1, 0x3334, v0
	s_load_b64 s[10:11], s[0:1], 0x50
	s_waitcnt lgkmcnt(0)
	s_load_b64 s[8:9], s[12:13], 0x0
	s_delay_alu instid0(VALU_DEP_1) | instskip(SKIP_2) | instid1(VALU_DEP_3)
	v_lshrrev_b32_e32 v2, 16, v1
	v_mov_b32_e32 v1, 0
	v_cmp_lt_u64_e64 s2, s[6:7], 2
	v_mad_u64_u32 v[120:121], null, s15, 12, v[2:3]
	v_mov_b32_e32 v3, 0
	s_delay_alu instid0(VALU_DEP_4) | instskip(NEXT) | instid1(VALU_DEP_4)
	v_dual_mov_b32 v4, 0 :: v_dual_mov_b32 v121, v1
	s_and_b32 vcc_lo, exec_lo, s2
	s_delay_alu instid0(VALU_DEP_1)
	v_dual_mov_b32 v7, v120 :: v_dual_mov_b32 v8, v121
	s_cbranch_vccnz .LBB0_8
; %bb.1:
	s_load_b64 s[2:3], s[0:1], 0x10
	v_mov_b32_e32 v3, 0
	v_dual_mov_b32 v4, 0 :: v_dual_mov_b32 v5, v120
	s_add_u32 s14, s12, 8
	v_mov_b32_e32 v6, v121
	s_addc_u32 s15, s13, 0
	s_mov_b64 s[18:19], 1
	s_waitcnt lgkmcnt(0)
	s_add_u32 s16, s2, 8
	s_addc_u32 s17, s3, 0
.LBB0_2:                                ; =>This Inner Loop Header: Depth=1
	s_load_b64 s[20:21], s[16:17], 0x0
                                        ; implicit-def: $vgpr7_vgpr8
	s_mov_b32 s2, exec_lo
	s_waitcnt lgkmcnt(0)
	v_or_b32_e32 v2, s21, v6
	s_delay_alu instid0(VALU_DEP_1)
	v_cmpx_ne_u64_e32 0, v[1:2]
	s_xor_b32 s3, exec_lo, s2
	s_cbranch_execz .LBB0_4
; %bb.3:                                ;   in Loop: Header=BB0_2 Depth=1
	v_cvt_f32_u32_e32 v2, s20
	v_cvt_f32_u32_e32 v7, s21
	s_sub_u32 s2, 0, s20
	s_subb_u32 s22, 0, s21
	s_delay_alu instid0(VALU_DEP_1) | instskip(NEXT) | instid1(VALU_DEP_1)
	v_fmac_f32_e32 v2, 0x4f800000, v7
	v_rcp_f32_e32 v2, v2
	s_waitcnt_depctr 0xfff
	v_mul_f32_e32 v2, 0x5f7ffffc, v2
	s_delay_alu instid0(VALU_DEP_1) | instskip(NEXT) | instid1(VALU_DEP_1)
	v_mul_f32_e32 v7, 0x2f800000, v2
	v_trunc_f32_e32 v7, v7
	s_delay_alu instid0(VALU_DEP_1) | instskip(SKIP_1) | instid1(VALU_DEP_2)
	v_fmac_f32_e32 v2, 0xcf800000, v7
	v_cvt_u32_f32_e32 v7, v7
	v_cvt_u32_f32_e32 v2, v2
	s_delay_alu instid0(VALU_DEP_2) | instskip(NEXT) | instid1(VALU_DEP_2)
	v_mul_lo_u32 v8, s2, v7
	v_mul_hi_u32 v9, s2, v2
	v_mul_lo_u32 v10, s22, v2
	s_delay_alu instid0(VALU_DEP_2) | instskip(SKIP_1) | instid1(VALU_DEP_2)
	v_add_nc_u32_e32 v8, v9, v8
	v_mul_lo_u32 v9, s2, v2
	v_add_nc_u32_e32 v8, v8, v10
	s_delay_alu instid0(VALU_DEP_2) | instskip(NEXT) | instid1(VALU_DEP_2)
	v_mul_hi_u32 v10, v2, v9
	v_mul_lo_u32 v11, v2, v8
	v_mul_hi_u32 v12, v2, v8
	v_mul_hi_u32 v13, v7, v9
	v_mul_lo_u32 v9, v7, v9
	v_mul_hi_u32 v14, v7, v8
	v_mul_lo_u32 v8, v7, v8
	v_add_co_u32 v10, vcc_lo, v10, v11
	v_add_co_ci_u32_e32 v11, vcc_lo, 0, v12, vcc_lo
	s_delay_alu instid0(VALU_DEP_2) | instskip(NEXT) | instid1(VALU_DEP_2)
	v_add_co_u32 v9, vcc_lo, v10, v9
	v_add_co_ci_u32_e32 v9, vcc_lo, v11, v13, vcc_lo
	v_add_co_ci_u32_e32 v10, vcc_lo, 0, v14, vcc_lo
	s_delay_alu instid0(VALU_DEP_2) | instskip(NEXT) | instid1(VALU_DEP_2)
	v_add_co_u32 v8, vcc_lo, v9, v8
	v_add_co_ci_u32_e32 v9, vcc_lo, 0, v10, vcc_lo
	s_delay_alu instid0(VALU_DEP_2) | instskip(NEXT) | instid1(VALU_DEP_2)
	v_add_co_u32 v2, vcc_lo, v2, v8
	v_add_co_ci_u32_e32 v7, vcc_lo, v7, v9, vcc_lo
	s_delay_alu instid0(VALU_DEP_2) | instskip(SKIP_1) | instid1(VALU_DEP_3)
	v_mul_hi_u32 v8, s2, v2
	v_mul_lo_u32 v10, s22, v2
	v_mul_lo_u32 v9, s2, v7
	s_delay_alu instid0(VALU_DEP_1) | instskip(SKIP_1) | instid1(VALU_DEP_2)
	v_add_nc_u32_e32 v8, v8, v9
	v_mul_lo_u32 v9, s2, v2
	v_add_nc_u32_e32 v8, v8, v10
	s_delay_alu instid0(VALU_DEP_2) | instskip(NEXT) | instid1(VALU_DEP_2)
	v_mul_hi_u32 v10, v2, v9
	v_mul_lo_u32 v11, v2, v8
	v_mul_hi_u32 v12, v2, v8
	v_mul_hi_u32 v13, v7, v9
	v_mul_lo_u32 v9, v7, v9
	v_mul_hi_u32 v14, v7, v8
	v_mul_lo_u32 v8, v7, v8
	v_add_co_u32 v10, vcc_lo, v10, v11
	v_add_co_ci_u32_e32 v11, vcc_lo, 0, v12, vcc_lo
	s_delay_alu instid0(VALU_DEP_2) | instskip(NEXT) | instid1(VALU_DEP_2)
	v_add_co_u32 v9, vcc_lo, v10, v9
	v_add_co_ci_u32_e32 v9, vcc_lo, v11, v13, vcc_lo
	v_add_co_ci_u32_e32 v10, vcc_lo, 0, v14, vcc_lo
	s_delay_alu instid0(VALU_DEP_2) | instskip(NEXT) | instid1(VALU_DEP_2)
	v_add_co_u32 v8, vcc_lo, v9, v8
	v_add_co_ci_u32_e32 v9, vcc_lo, 0, v10, vcc_lo
	s_delay_alu instid0(VALU_DEP_2) | instskip(NEXT) | instid1(VALU_DEP_2)
	v_add_co_u32 v2, vcc_lo, v2, v8
	v_add_co_ci_u32_e32 v13, vcc_lo, v7, v9, vcc_lo
	s_delay_alu instid0(VALU_DEP_2) | instskip(SKIP_1) | instid1(VALU_DEP_3)
	v_mul_hi_u32 v14, v5, v2
	v_mad_u64_u32 v[9:10], null, v6, v2, 0
	v_mad_u64_u32 v[7:8], null, v5, v13, 0
	;; [unrolled: 1-line block ×3, first 2 shown]
	s_delay_alu instid0(VALU_DEP_2) | instskip(NEXT) | instid1(VALU_DEP_3)
	v_add_co_u32 v2, vcc_lo, v14, v7
	v_add_co_ci_u32_e32 v7, vcc_lo, 0, v8, vcc_lo
	s_delay_alu instid0(VALU_DEP_2) | instskip(NEXT) | instid1(VALU_DEP_2)
	v_add_co_u32 v2, vcc_lo, v2, v9
	v_add_co_ci_u32_e32 v2, vcc_lo, v7, v10, vcc_lo
	v_add_co_ci_u32_e32 v7, vcc_lo, 0, v12, vcc_lo
	s_delay_alu instid0(VALU_DEP_2) | instskip(NEXT) | instid1(VALU_DEP_2)
	v_add_co_u32 v2, vcc_lo, v2, v11
	v_add_co_ci_u32_e32 v9, vcc_lo, 0, v7, vcc_lo
	s_delay_alu instid0(VALU_DEP_2) | instskip(SKIP_1) | instid1(VALU_DEP_3)
	v_mul_lo_u32 v10, s21, v2
	v_mad_u64_u32 v[7:8], null, s20, v2, 0
	v_mul_lo_u32 v11, s20, v9
	s_delay_alu instid0(VALU_DEP_2) | instskip(NEXT) | instid1(VALU_DEP_2)
	v_sub_co_u32 v7, vcc_lo, v5, v7
	v_add3_u32 v8, v8, v11, v10
	s_delay_alu instid0(VALU_DEP_1) | instskip(NEXT) | instid1(VALU_DEP_1)
	v_sub_nc_u32_e32 v10, v6, v8
	v_subrev_co_ci_u32_e64 v10, s2, s21, v10, vcc_lo
	v_add_co_u32 v11, s2, v2, 2
	s_delay_alu instid0(VALU_DEP_1) | instskip(SKIP_3) | instid1(VALU_DEP_3)
	v_add_co_ci_u32_e64 v12, s2, 0, v9, s2
	v_sub_co_u32 v13, s2, v7, s20
	v_sub_co_ci_u32_e32 v8, vcc_lo, v6, v8, vcc_lo
	v_subrev_co_ci_u32_e64 v10, s2, 0, v10, s2
	v_cmp_le_u32_e32 vcc_lo, s20, v13
	s_delay_alu instid0(VALU_DEP_3) | instskip(SKIP_1) | instid1(VALU_DEP_4)
	v_cmp_eq_u32_e64 s2, s21, v8
	v_cndmask_b32_e64 v13, 0, -1, vcc_lo
	v_cmp_le_u32_e32 vcc_lo, s21, v10
	v_cndmask_b32_e64 v14, 0, -1, vcc_lo
	v_cmp_le_u32_e32 vcc_lo, s20, v7
	;; [unrolled: 2-line block ×3, first 2 shown]
	v_cndmask_b32_e64 v15, 0, -1, vcc_lo
	v_cmp_eq_u32_e32 vcc_lo, s21, v10
	s_delay_alu instid0(VALU_DEP_2) | instskip(SKIP_3) | instid1(VALU_DEP_3)
	v_cndmask_b32_e64 v7, v15, v7, s2
	v_cndmask_b32_e32 v10, v14, v13, vcc_lo
	v_add_co_u32 v13, vcc_lo, v2, 1
	v_add_co_ci_u32_e32 v14, vcc_lo, 0, v9, vcc_lo
	v_cmp_ne_u32_e32 vcc_lo, 0, v10
	s_delay_alu instid0(VALU_DEP_2) | instskip(NEXT) | instid1(VALU_DEP_4)
	v_cndmask_b32_e32 v8, v14, v12, vcc_lo
	v_cndmask_b32_e32 v10, v13, v11, vcc_lo
	v_cmp_ne_u32_e32 vcc_lo, 0, v7
	s_delay_alu instid0(VALU_DEP_2)
	v_dual_cndmask_b32 v7, v2, v10 :: v_dual_cndmask_b32 v8, v9, v8
.LBB0_4:                                ;   in Loop: Header=BB0_2 Depth=1
	s_and_not1_saveexec_b32 s2, s3
	s_cbranch_execz .LBB0_6
; %bb.5:                                ;   in Loop: Header=BB0_2 Depth=1
	v_cvt_f32_u32_e32 v2, s20
	s_sub_i32 s3, 0, s20
	s_delay_alu instid0(VALU_DEP_1) | instskip(SKIP_2) | instid1(VALU_DEP_1)
	v_rcp_iflag_f32_e32 v2, v2
	s_waitcnt_depctr 0xfff
	v_mul_f32_e32 v2, 0x4f7ffffe, v2
	v_cvt_u32_f32_e32 v2, v2
	s_delay_alu instid0(VALU_DEP_1) | instskip(NEXT) | instid1(VALU_DEP_1)
	v_mul_lo_u32 v7, s3, v2
	v_mul_hi_u32 v7, v2, v7
	s_delay_alu instid0(VALU_DEP_1) | instskip(NEXT) | instid1(VALU_DEP_1)
	v_add_nc_u32_e32 v2, v2, v7
	v_mul_hi_u32 v2, v5, v2
	s_delay_alu instid0(VALU_DEP_1) | instskip(SKIP_1) | instid1(VALU_DEP_2)
	v_mul_lo_u32 v7, v2, s20
	v_add_nc_u32_e32 v8, 1, v2
	v_sub_nc_u32_e32 v7, v5, v7
	s_delay_alu instid0(VALU_DEP_1) | instskip(SKIP_1) | instid1(VALU_DEP_2)
	v_subrev_nc_u32_e32 v9, s20, v7
	v_cmp_le_u32_e32 vcc_lo, s20, v7
	v_dual_cndmask_b32 v7, v7, v9 :: v_dual_cndmask_b32 v2, v2, v8
	s_delay_alu instid0(VALU_DEP_1) | instskip(NEXT) | instid1(VALU_DEP_2)
	v_cmp_le_u32_e32 vcc_lo, s20, v7
	v_add_nc_u32_e32 v8, 1, v2
	s_delay_alu instid0(VALU_DEP_1)
	v_dual_cndmask_b32 v7, v2, v8 :: v_dual_mov_b32 v8, v1
.LBB0_6:                                ;   in Loop: Header=BB0_2 Depth=1
	s_or_b32 exec_lo, exec_lo, s2
	s_load_b64 s[2:3], s[14:15], 0x0
	s_delay_alu instid0(VALU_DEP_1) | instskip(NEXT) | instid1(VALU_DEP_2)
	v_mul_lo_u32 v2, v8, s20
	v_mul_lo_u32 v11, v7, s21
	v_mad_u64_u32 v[9:10], null, v7, s20, 0
	s_add_u32 s18, s18, 1
	s_addc_u32 s19, s19, 0
	s_add_u32 s14, s14, 8
	s_addc_u32 s15, s15, 0
	;; [unrolled: 2-line block ×3, first 2 shown]
	s_delay_alu instid0(VALU_DEP_1) | instskip(SKIP_1) | instid1(VALU_DEP_2)
	v_add3_u32 v2, v10, v11, v2
	v_sub_co_u32 v9, vcc_lo, v5, v9
	v_sub_co_ci_u32_e32 v2, vcc_lo, v6, v2, vcc_lo
	s_waitcnt lgkmcnt(0)
	s_delay_alu instid0(VALU_DEP_2) | instskip(NEXT) | instid1(VALU_DEP_2)
	v_mul_lo_u32 v10, s3, v9
	v_mul_lo_u32 v2, s2, v2
	v_mad_u64_u32 v[5:6], null, s2, v9, v[3:4]
	v_cmp_ge_u64_e64 s2, s[18:19], s[6:7]
	s_delay_alu instid0(VALU_DEP_1) | instskip(NEXT) | instid1(VALU_DEP_2)
	s_and_b32 vcc_lo, exec_lo, s2
	v_add3_u32 v4, v10, v6, v2
	s_delay_alu instid0(VALU_DEP_3)
	v_mov_b32_e32 v3, v5
	s_cbranch_vccnz .LBB0_8
; %bb.7:                                ;   in Loop: Header=BB0_2 Depth=1
	v_dual_mov_b32 v5, v7 :: v_dual_mov_b32 v6, v8
	s_branch .LBB0_2
.LBB0_8:
	s_lshl_b64 s[2:3], s[6:7], 3
	v_mul_hi_u32 v1, 0x33333334, v0
	s_add_u32 s2, s12, s2
	s_addc_u32 s3, s13, s3
	s_load_b64 s[0:1], s[0:1], 0x20
	s_load_b64 s[2:3], s[2:3], 0x0
                                        ; implicit-def: $vgpr122
                                        ; implicit-def: $vgpr123
                                        ; implicit-def: $vgpr127
                                        ; implicit-def: $vgpr128
                                        ; implicit-def: $vgpr129
                                        ; implicit-def: $vgpr124
                                        ; implicit-def: $vgpr130
                                        ; implicit-def: $vgpr125
                                        ; implicit-def: $vgpr126
	s_delay_alu instid0(VALU_DEP_1) | instskip(NEXT) | instid1(VALU_DEP_1)
	v_mul_u32_u24_e32 v1, 5, v1
	v_sub_nc_u32_e32 v176, v0, v1
	s_delay_alu instid0(VALU_DEP_1)
	v_add_nc_u32_e32 v182, 5, v176
	v_add_nc_u32_e32 v179, 10, v176
	;; [unrolled: 1-line block ×4, first 2 shown]
	v_or_b32_e32 v174, 40, v176
	s_waitcnt lgkmcnt(0)
	v_cmp_gt_u64_e32 vcc_lo, s[0:1], v[7:8]
	v_mul_lo_u32 v2, s2, v8
	v_mul_lo_u32 v5, s3, v7
	v_mad_u64_u32 v[0:1], null, s2, v7, v[3:4]
	v_cmp_le_u64_e64 s0, s[0:1], v[7:8]
	v_add_nc_u32_e32 v181, 15, v176
	v_add_nc_u32_e32 v170, 45, v176
	;; [unrolled: 1-line block ×4, first 2 shown]
	v_or_b32_e32 v121, 0x50, v176
	v_add3_u32 v1, v5, v1, v2
	s_and_saveexec_b32 s1, s0
	s_delay_alu instid0(SALU_CYCLE_1)
	s_xor_b32 s0, exec_lo, s1
; %bb.9:
	v_add_nc_u32_e32 v122, 5, v176
	v_add_nc_u32_e32 v123, 10, v176
	;; [unrolled: 1-line block ×4, first 2 shown]
	v_or_b32_e32 v129, 40, v176
	v_add_nc_u32_e32 v124, 15, v176
	v_add_nc_u32_e32 v130, 45, v176
	;; [unrolled: 1-line block ×4, first 2 shown]
	v_or_b32_e32 v121, 0x50, v176
; %bb.10:
	s_or_saveexec_b32 s1, s0
	v_lshlrev_b64 v[144:145], 4, v[0:1]
	v_add_nc_u32_e32 v0, 0x5a, v176
	v_add_nc_u32_e32 v185, 60, v176
	v_add_nc_u32_e32 v187, 0x69, v176
	v_or_b32_e32 v171, 0x78, v176
	v_add_nc_u32_e32 v189, 50, v176
	scratch_store_b32 off, v0, off          ; 4-byte Folded Spill
	v_add_nc_u32_e32 v0, 0x87, v176
	v_add_nc_u32_e32 v173, 0x41, v176
	;; [unrolled: 1-line block ×6, first 2 shown]
	scratch_store_b32 off, v0, off offset:4 ; 4-byte Folded Spill
                                        ; implicit-def: $vgpr2_vgpr3
                                        ; implicit-def: $vgpr6_vgpr7
                                        ; implicit-def: $vgpr10_vgpr11
                                        ; implicit-def: $vgpr14_vgpr15
                                        ; implicit-def: $vgpr22_vgpr23
                                        ; implicit-def: $vgpr26_vgpr27
                                        ; implicit-def: $vgpr46_vgpr47
                                        ; implicit-def: $vgpr30_vgpr31
                                        ; implicit-def: $vgpr42_vgpr43
                                        ; implicit-def: $vgpr38_vgpr39
                                        ; implicit-def: $vgpr18_vgpr19
                                        ; implicit-def: $vgpr34_vgpr35
                                        ; implicit-def: $vgpr50_vgpr51
                                        ; implicit-def: $vgpr58_vgpr59
                                        ; implicit-def: $vgpr54_vgpr55
                                        ; implicit-def: $vgpr78_vgpr79
                                        ; implicit-def: $vgpr62_vgpr63
                                        ; implicit-def: $vgpr102_vgpr103
                                        ; implicit-def: $vgpr66_vgpr67
                                        ; implicit-def: $vgpr82_vgpr83
                                        ; implicit-def: $vgpr70_vgpr71
                                        ; implicit-def: $vgpr74_vgpr75
                                        ; implicit-def: $vgpr86_vgpr87
                                        ; implicit-def: $vgpr90_vgpr91
                                        ; implicit-def: $vgpr94_vgpr95
                                        ; implicit-def: $vgpr98_vgpr99
                                        ; implicit-def: $vgpr114_vgpr115
                                        ; implicit-def: $vgpr118_vgpr119
                                        ; implicit-def: $vgpr106_vgpr107
                                        ; implicit-def: $vgpr110_vgpr111
	s_xor_b32 exec_lo, exec_lo, s1
	s_cbranch_execz .LBB0_12
; %bb.11:
	v_mad_u64_u32 v[0:1], null, s8, v176, 0
	v_mad_u64_u32 v[2:3], null, s8, v181, 0
	;; [unrolled: 1-line block ×3, first 2 shown]
	v_add_nc_u32_e32 v19, 0x5a, v176
	v_add_co_u32 v20, s0, s10, v144
	s_delay_alu instid0(VALU_DEP_1)
	v_add_co_ci_u32_e64 v21, s0, s11, v145, s0
	v_mad_u64_u32 v[6:7], null, s9, v176, v[1:2]
	v_mad_u64_u32 v[7:8], null, s8, v170, 0
	v_mov_b32_e32 v1, v5
	v_mad_u64_u32 v[9:10], null, s9, v181, v[3:4]
	v_mad_u64_u32 v[15:16], null, s8, v19, 0
	s_delay_alu instid0(VALU_DEP_3)
	v_mad_u64_u32 v[10:11], null, s9, v177, v[1:2]
	v_mad_u64_u32 v[11:12], null, s8, v185, 0
	v_dual_mov_b32 v1, v6 :: v_dual_mov_b32 v6, v8
	v_add_nc_u32_e32 v17, 0x4b, v176
	v_mad_u64_u32 v[46:47], null, s8, v178, 0
	v_dual_mov_b32 v5, v10 :: v_dual_add_nc_u32 v60, 0x64, v176
	s_delay_alu instid0(VALU_DEP_3)
	v_mad_u64_u32 v[13:14], null, s8, v17, 0
	v_mov_b32_e32 v3, v9
	v_mad_u64_u32 v[8:9], null, s9, v170, v[6:7]
	v_mov_b32_e32 v6, v12
	v_lshlrev_b64 v[0:1], 4, v[0:1]
	v_add_nc_u32_e32 v62, 0x91, v176
	v_add_nc_u32_e32 v43, 0x5f, v176
	;; [unrolled: 1-line block ×3, first 2 shown]
	v_mad_u64_u32 v[9:10], null, s9, v185, v[6:7]
	v_lshlrev_b64 v[6:7], 4, v[7:8]
	v_mov_b32_e32 v8, v14
	v_lshlrev_b64 v[2:3], 4, v[2:3]
	v_add_co_u32 v0, s0, v20, v0
	s_delay_alu instid0(VALU_DEP_1) | instskip(SKIP_4) | instid1(VALU_DEP_1)
	v_add_co_ci_u32_e64 v1, s0, v21, v1, s0
	v_mov_b32_e32 v12, v9
	v_lshlrev_b64 v[4:5], 4, v[4:5]
	v_mad_u64_u32 v[9:10], null, s9, v17, v[8:9]
	v_add_co_u32 v2, s0, v20, v2
	v_add_co_ci_u32_e64 v3, s0, v21, v3, s0
	s_delay_alu instid0(VALU_DEP_4)
	v_add_co_u32 v4, s0, v20, v4
	v_lshlrev_b64 v[10:11], 4, v[11:12]
	v_mov_b32_e32 v8, v16
	v_mad_u64_u32 v[17:18], null, s8, v187, 0
	v_add_co_ci_u32_e64 v5, s0, v21, v5, s0
	v_add_co_u32 v6, s0, v20, v6
	v_mov_b32_e32 v14, v9
	v_add_co_ci_u32_e64 v7, s0, v21, v7, s0
	v_mad_u64_u32 v[22:23], null, s9, v19, v[8:9]
	v_add_co_u32 v8, s0, v20, v10
	s_delay_alu instid0(VALU_DEP_1) | instskip(SKIP_4) | instid1(VALU_DEP_3)
	v_add_co_ci_u32_e64 v9, s0, v21, v11, s0
	v_lshlrev_b64 v[11:12], 4, v[13:14]
	v_dual_mov_b32 v10, v18 :: v_dual_add_nc_u32 v19, 0x87, v176
	v_mad_u64_u32 v[23:24], null, s8, v171, 0
	v_mov_b32_e32 v16, v22
	v_mad_u64_u32 v[13:14], null, s9, v187, v[10:11]
	v_add_co_u32 v10, s0, v20, v11
	s_delay_alu instid0(VALU_DEP_1) | instskip(SKIP_4) | instid1(VALU_DEP_4)
	v_add_co_ci_u32_e64 v11, s0, v21, v12, s0
	v_mov_b32_e32 v12, v24
	v_mad_u64_u32 v[25:26], null, s8, v19, 0
	v_lshlrev_b64 v[14:15], 4, v[15:16]
	v_mov_b32_e32 v18, v13
	v_mad_u64_u32 v[27:28], null, s9, v171, v[12:13]
	v_mad_u64_u32 v[28:29], null, s8, v182, 0
	v_mov_b32_e32 v16, v26
	v_add_co_u32 v12, s0, v20, v14
	s_delay_alu instid0(VALU_DEP_1) | instskip(SKIP_4) | instid1(VALU_DEP_3)
	v_add_co_ci_u32_e64 v13, s0, v21, v15, s0
	v_lshlrev_b64 v[14:15], 4, v[17:18]
	v_mov_b32_e32 v24, v27
	v_mad_u64_u32 v[17:18], null, s9, v19, v[16:17]
	v_dual_mov_b32 v16, v29 :: v_dual_add_nc_u32 v61, 0x73, v176
	v_lshlrev_b64 v[18:19], 4, v[23:24]
	v_add_co_u32 v14, s0, v20, v14
	s_delay_alu instid0(VALU_DEP_1)
	v_add_co_ci_u32_e64 v15, s0, v21, v15, s0
	v_mov_b32_e32 v26, v17
	v_mad_u64_u32 v[29:30], null, s9, v182, v[16:17]
	v_add_co_u32 v16, s0, v20, v18
	v_mad_u64_u32 v[22:23], null, s8, v180, 0
	v_add_co_ci_u32_e64 v17, s0, v21, v19, s0
	v_lshlrev_b64 v[18:19], 4, v[25:26]
	v_mad_u64_u32 v[24:25], null, s8, v175, 0
	s_delay_alu instid0(VALU_DEP_2) | instskip(NEXT) | instid1(VALU_DEP_1)
	v_add_co_u32 v18, s0, v20, v18
	v_add_co_ci_u32_e64 v19, s0, v21, v19, s0
	s_delay_alu instid0(VALU_DEP_3) | instskip(SKIP_2) | instid1(VALU_DEP_3)
	v_mad_u64_u32 v[26:27], null, s9, v180, v[23:24]
	v_lshlrev_b64 v[27:28], 4, v[28:29]
	v_mad_u64_u32 v[29:30], null, s8, v189, 0
	v_mov_b32_e32 v23, v26
	v_mad_u64_u32 v[31:32], null, s9, v175, v[25:26]
	s_delay_alu instid0(VALU_DEP_4) | instskip(NEXT) | instid1(VALU_DEP_4)
	v_add_co_u32 v26, s0, v20, v27
	v_mov_b32_e32 v25, v30
	v_mad_u64_u32 v[32:33], null, s8, v173, 0
	v_add_co_ci_u32_e64 v27, s0, v21, v28, s0
	s_delay_alu instid0(VALU_DEP_3) | instskip(SKIP_3) | instid1(VALU_DEP_3)
	v_mad_u64_u32 v[34:35], null, s9, v189, v[25:26]
	v_mov_b32_e32 v25, v31
	v_lshlrev_b64 v[22:23], 4, v[22:23]
	v_mov_b32_e32 v28, v33
	v_lshlrev_b64 v[24:25], 4, v[24:25]
	v_mov_b32_e32 v30, v34
	v_mad_u64_u32 v[34:35], null, s8, v121, 0
	s_delay_alu instid0(VALU_DEP_4) | instskip(NEXT) | instid1(VALU_DEP_3)
	v_mad_u64_u32 v[36:37], null, s9, v173, v[28:29]
	v_lshlrev_b64 v[29:30], 4, v[29:30]
	v_add_co_u32 v22, s0, v20, v22
	v_mad_u64_u32 v[37:38], null, s8, v43, 0
	v_mov_b32_e32 v28, v35
	v_add_co_ci_u32_e64 v23, s0, v21, v23, s0
	v_add_co_u32 v24, s0, v20, v24
	s_delay_alu instid0(VALU_DEP_3) | instskip(SKIP_3) | instid1(VALU_DEP_1)
	v_mad_u64_u32 v[39:40], null, s9, v121, v[28:29]
	v_mov_b32_e32 v33, v36
	v_add_co_ci_u32_e64 v25, s0, v21, v25, s0
	v_add_co_u32 v28, s0, v20, v29
	v_add_co_ci_u32_e64 v29, s0, v21, v30, s0
	s_delay_alu instid0(VALU_DEP_4) | instskip(SKIP_2) | instid1(VALU_DEP_2)
	v_lshlrev_b64 v[30:31], 4, v[32:33]
	v_dual_mov_b32 v32, v38 :: v_dual_mov_b32 v35, v39
	v_mad_u64_u32 v[39:40], null, s8, v188, 0
	v_mad_u64_u32 v[41:42], null, s9, v43, v[32:33]
	s_delay_alu instid0(VALU_DEP_3) | instskip(SKIP_1) | instid1(VALU_DEP_4)
	v_lshlrev_b64 v[32:33], 4, v[34:35]
	v_mad_u64_u32 v[35:36], null, s8, v45, 0
	v_mov_b32_e32 v34, v40
	v_add_co_u32 v30, s0, v20, v30
	v_mov_b32_e32 v38, v41
	v_add_co_ci_u32_e64 v31, s0, v21, v31, s0
	s_delay_alu instid0(VALU_DEP_4) | instskip(SKIP_1) | instid1(VALU_DEP_4)
	v_mad_u64_u32 v[40:41], null, s9, v188, v[34:35]
	v_mov_b32_e32 v34, v36
	v_lshlrev_b64 v[36:37], 4, v[37:38]
	v_add_co_u32 v32, s0, v20, v32
	v_mad_u64_u32 v[41:42], null, s8, v172, 0
	s_delay_alu instid0(VALU_DEP_4) | instskip(SKIP_2) | instid1(VALU_DEP_1)
	v_mad_u64_u32 v[43:44], null, s9, v45, v[34:35]
	v_add_co_ci_u32_e64 v33, s0, v21, v33, s0
	v_add_co_u32 v44, s0, v20, v36
	v_add_co_ci_u32_e64 v45, s0, v21, v37, s0
	v_lshlrev_b64 v[37:38], 4, v[39:40]
	v_mad_u64_u32 v[39:40], null, s8, v179, 0
	v_mov_b32_e32 v34, v42
	v_mov_b32_e32 v36, v43
	s_delay_alu instid0(VALU_DEP_4) | instskip(NEXT) | instid1(VALU_DEP_3)
	v_add_co_u32 v37, s0, v20, v37
	v_mad_u64_u32 v[42:43], null, s9, v172, v[34:35]
	s_delay_alu instid0(VALU_DEP_3) | instskip(SKIP_2) | instid1(VALU_DEP_2)
	v_lshlrev_b64 v[34:35], 4, v[35:36]
	v_dual_mov_b32 v36, v40 :: v_dual_add_nc_u32 v43, 0x55, v176
	v_add_co_ci_u32_e64 v38, s0, v21, v38, s0
	v_mad_u64_u32 v[48:49], null, s9, v179, v[36:37]
	v_mov_b32_e32 v36, v47
	v_mad_u64_u32 v[49:50], null, s8, v174, 0
	v_lshlrev_b64 v[41:42], 4, v[41:42]
	v_add_co_u32 v34, s0, v20, v34
	s_delay_alu instid0(VALU_DEP_4)
	v_mad_u64_u32 v[51:52], null, s9, v178, v[36:37]
	v_mov_b32_e32 v40, v48
	v_mov_b32_e32 v36, v50
	v_mad_u64_u32 v[56:57], null, s8, v43, 0
	v_add_co_ci_u32_e64 v35, s0, v21, v35, s0
	v_mov_b32_e32 v47, v51
	v_mad_u64_u32 v[51:52], null, s8, v190, 0
	v_mad_u64_u32 v[53:54], null, s9, v174, v[36:37]
	;; [unrolled: 1-line block ×3, first 2 shown]
	v_lshlrev_b64 v[39:40], 4, v[39:40]
	v_add_co_u32 v41, s0, v20, v41
	v_mov_b32_e32 v36, v52
	v_mov_b32_e32 v50, v53
	v_lshlrev_b64 v[46:47], 4, v[46:47]
	v_add_co_ci_u32_e64 v42, s0, v21, v42, s0
	s_delay_alu instid0(VALU_DEP_4)
	v_mad_u64_u32 v[52:53], null, s9, v190, v[36:37]
	v_mov_b32_e32 v36, v55
	v_add_co_u32 v39, s0, v20, v39
	v_lshlrev_b64 v[48:49], 4, v[49:50]
	v_add_co_ci_u32_e64 v40, s0, v21, v40, s0
	v_add_co_u32 v46, s0, v20, v46
	v_mad_u64_u32 v[58:59], null, s9, v186, v[36:37]
	v_mov_b32_e32 v36, v57
	v_add_co_ci_u32_e64 v47, s0, v21, v47, s0
	v_add_co_u32 v122, s0, v20, v48
	s_delay_alu instid0(VALU_DEP_1)
	v_add_co_ci_u32_e64 v123, s0, v21, v49, s0
	v_lshlrev_b64 v[48:49], 4, v[51:52]
	v_mad_u64_u32 v[50:51], null, s9, v43, v[36:37]
	v_mad_u64_u32 v[51:52], null, s8, v60, 0
	v_mov_b32_e32 v55, v58
	v_mad_u64_u32 v[58:59], null, s8, v61, 0
	v_add_co_u32 v124, s0, v20, v48
	s_delay_alu instid0(VALU_DEP_4) | instskip(SKIP_3) | instid1(VALU_DEP_4)
	v_dual_mov_b32 v57, v50 :: v_dual_mov_b32 v36, v52
	v_add_nc_u32_e32 v50, 0x82, v176
	v_add_co_ci_u32_e64 v125, s0, v21, v49, s0
	v_mov_b32_e32 v43, v59
	v_mad_u64_u32 v[52:53], null, s9, v60, v[36:37]
	v_lshlrev_b64 v[48:49], 4, v[54:55]
	v_mad_u64_u32 v[53:54], null, s8, v50, 0
	s_delay_alu instid0(VALU_DEP_4) | instskip(SKIP_1) | instid1(VALU_DEP_4)
	v_mad_u64_u32 v[59:60], null, s9, v61, v[43:44]
	v_mad_u64_u32 v[60:61], null, s8, v62, 0
	v_add_co_u32 v126, s0, v20, v48
	s_delay_alu instid0(VALU_DEP_4) | instskip(SKIP_2) | instid1(VALU_DEP_3)
	v_mov_b32_e32 v36, v54
	v_add_co_ci_u32_e64 v127, s0, v21, v49, s0
	v_lshlrev_b64 v[48:49], 4, v[56:57]
	v_mad_u64_u32 v[54:55], null, s9, v50, v[36:37]
	v_mov_b32_e32 v36, v61
	s_delay_alu instid0(VALU_DEP_3) | instskip(NEXT) | instid1(VALU_DEP_1)
	v_add_co_u32 v128, s0, v20, v48
	v_add_co_ci_u32_e64 v129, s0, v21, v49, s0
	v_lshlrev_b64 v[48:49], 4, v[51:52]
	s_delay_alu instid0(VALU_DEP_4) | instskip(SKIP_1) | instid1(VALU_DEP_3)
	v_mad_u64_u32 v[50:51], null, s9, v62, v[36:37]
	v_lshlrev_b64 v[51:52], 4, v[58:59]
	v_add_co_u32 v130, s0, v20, v48
	s_delay_alu instid0(VALU_DEP_1) | instskip(NEXT) | instid1(VALU_DEP_4)
	v_add_co_ci_u32_e64 v131, s0, v21, v49, s0
	v_mov_b32_e32 v61, v50
	v_lshlrev_b64 v[48:49], 4, v[53:54]
	v_add_co_u32 v132, s0, v20, v51
	s_delay_alu instid0(VALU_DEP_1) | instskip(NEXT) | instid1(VALU_DEP_4)
	v_add_co_ci_u32_e64 v133, s0, v21, v52, s0
	v_lshlrev_b64 v[50:51], 4, v[60:61]
	s_delay_alu instid0(VALU_DEP_4) | instskip(NEXT) | instid1(VALU_DEP_1)
	v_add_co_u32 v134, s0, v20, v48
	v_add_co_ci_u32_e64 v135, s0, v21, v49, s0
	s_delay_alu instid0(VALU_DEP_3) | instskip(NEXT) | instid1(VALU_DEP_1)
	v_add_co_u32 v136, s0, v20, v50
	v_add_co_ci_u32_e64 v137, s0, v21, v51, s0
	s_clause 0x1d
	global_load_b128 v[108:111], v[0:1], off
	global_load_b128 v[104:107], v[2:3], off
	;; [unrolled: 1-line block ×30, first 2 shown]
	v_dual_mov_b32 v123, v179 :: v_dual_mov_b32 v126, v178
	v_dual_mov_b32 v125, v180 :: v_dual_mov_b32 v130, v170
	v_dual_mov_b32 v124, v181 :: v_dual_mov_b32 v129, v174
	v_dual_mov_b32 v128, v175 :: v_dual_mov_b32 v127, v177
	v_mov_b32_e32 v122, v182
.LBB0_12:
	s_or_b32 exec_lo, exec_lo, s1
	s_waitcnt vmcnt(23)
	v_add_f64 v[131:132], v[88:89], v[96:97]
	s_waitcnt vmcnt(21)
	v_add_f64 v[133:134], v[72:73], v[116:117]
	v_add_f64 v[135:136], v[90:91], v[98:99]
	;; [unrolled: 1-line block ×3, first 2 shown]
	s_waitcnt vmcnt(20)
	v_add_f64 v[141:142], v[68:69], v[112:113]
	v_add_f64 v[154:155], v[70:71], v[114:115]
	;; [unrolled: 1-line block ×8, first 2 shown]
	v_add_f64 v[158:159], v[118:119], -v[74:75]
	v_add_f64 v[160:161], v[98:99], -v[90:91]
	;; [unrolled: 1-line block ×14, first 2 shown]
	s_waitcnt vmcnt(11)
	v_add_f64 v[221:222], v[32:33], v[100:101]
	s_mov_b32 s2, 0x134454ff
	s_mov_b32 s3, 0x3fee6f0e
	;; [unrolled: 1-line block ×4, first 2 shown]
	v_add_f64 v[164:165], v[72:73], -v[88:89]
	v_add_f64 v[118:119], v[98:99], -v[118:119]
	;; [unrolled: 1-line block ×7, first 2 shown]
	v_fma_f64 v[131:132], v[131:132], -0.5, v[108:109]
	v_fma_f64 v[133:134], v[133:134], -0.5, v[108:109]
	;; [unrolled: 1-line block ×8, first 2 shown]
	v_add_f64 v[219:220], v[56:57], v[76:77]
	v_add_f64 v[96:97], v[96:97], v[146:147]
	;; [unrolled: 1-line block ×5, first 2 shown]
	v_add_f64 v[217:218], v[86:87], -v[70:71]
	v_add_f64 v[211:212], v[68:69], -v[84:85]
	v_add_f64 v[215:216], v[70:71], -v[86:87]
	s_waitcnt vmcnt(10)
	v_add_f64 v[235:236], v[16:17], v[60:61]
	v_add_f64 v[225:226], v[100:101], v[80:81]
	;; [unrolled: 1-line block ×5, first 2 shown]
	v_add_f64 v[241:242], v[78:79], -v[58:59]
	s_mov_b32 s12, 0x4755a5e
	s_mov_b32 s13, 0x3fe2cf23
	;; [unrolled: 1-line block ×3, first 2 shown]
	v_add_f64 v[168:169], v[195:196], v[168:169]
	v_fma_f64 v[195:196], v[221:222], -0.5, v[80:81]
	s_mov_b32 s14, s12
	v_add_f64 v[223:224], v[34:35], v[102:103]
	v_add_f64 v[227:228], v[102:103], v[82:83]
	v_add_f64 v[106:107], v[102:103], -v[34:35]
	v_add_f64 v[251:252], v[18:19], v[62:63]
	v_add_f64 v[162:163], v[164:165], v[162:163]
	;; [unrolled: 1-line block ×4, first 2 shown]
	v_mul_hi_u32 v143, 0xaaaaaaab, v120
	v_add_f64 v[110:111], v[100:101], -v[76:77]
	v_add_f64 v[108:109], v[76:77], -v[100:101]
	v_fma_f64 v[146:147], v[158:159], s[2:3], v[131:132]
	v_fma_f64 v[131:132], v[158:159], s[6:7], v[131:132]
	;; [unrolled: 1-line block ×16, first 2 shown]
	v_fma_f64 v[166:167], v[219:220], -0.5, v[80:81]
	v_add_f64 v[80:81], v[88:89], v[96:97]
	v_add_f64 v[88:89], v[90:91], v[98:99]
	;; [unrolled: 1-line block ×6, first 2 shown]
	v_add_f64 v[100:101], v[100:101], -v[32:33]
	v_fma_f64 v[201:202], v[231:232], -0.5, v[64:65]
	v_lshrrev_b32_e32 v143, 3, v143
	v_fma_f64 v[217:218], v[241:242], s[6:7], v[195:196]
	s_mov_b32 s16, 0x372fe950
	s_mov_b32 s17, 0x3fd3c6ef
	v_add_f64 v[104:105], v[102:103], -v[78:79]
	v_mul_lo_u32 v84, v143, 12
	v_add_f64 v[102:103], v[78:79], -v[102:103]
	v_add_f64 v[243:244], v[76:77], -v[56:57]
	;; [unrolled: 1-line block ×5, first 2 shown]
	s_mov_b32 s0, 0x9b97f4a8
	s_mov_b32 s1, 0x3fe9e377
	v_fma_f64 v[95:96], v[160:161], s[12:13], v[146:147]
	v_fma_f64 v[97:98], v[160:161], s[14:15], v[131:132]
	v_fma_f64 v[131:132], v[158:159], s[12:13], v[148:149]
	v_fma_f64 v[133:134], v[158:159], s[14:15], v[133:134]
	v_fma_f64 v[146:147], v[193:194], s[14:15], v[150:151]
	v_fma_f64 v[148:149], v[116:117], s[14:15], v[156:157]
	v_fma_f64 v[116:117], v[116:117], s[12:13], v[137:138]
	v_add_f64 v[150:151], v[213:214], v[203:204]
	v_fma_f64 v[141:142], v[199:200], s[14:15], v[141:142]
	v_fma_f64 v[197:198], v[112:113], s[14:15], v[247:248]
	v_fma_f64 v[112:113], v[112:113], s[12:13], v[154:155]
	v_fma_f64 v[135:136], v[193:194], s[12:13], v[135:136]
	v_fma_f64 v[137:138], v[207:208], s[12:13], v[233:234]
	v_fma_f64 v[139:140], v[207:208], s[14:15], v[139:140]
	v_fma_f64 v[156:157], v[199:200], s[12:13], v[237:238]
	v_add_f64 v[160:161], v[215:216], v[205:206]
	v_fma_f64 v[193:194], v[209:210], s[14:15], v[245:246]
	v_fma_f64 v[152:153], v[209:210], s[12:13], v[152:153]
	v_add_f64 v[154:155], v[54:55], -v[50:51]
	v_fma_f64 v[209:210], v[235:236], -0.5, v[64:65]
	v_fma_f64 v[158:159], v[229:230], -0.5, v[82:83]
	v_add_f64 v[199:200], v[62:63], -v[18:19]
	v_add_f64 v[203:204], v[60:61], -v[16:17]
	v_add_f64 v[207:208], v[76:77], v[225:226]
	v_fma_f64 v[215:216], v[239:240], -0.5, v[66:67]
	v_sub_nc_u32_e32 v92, v120, v84
	v_fma_f64 v[205:206], v[223:224], -0.5, v[82:83]
	v_fma_f64 v[211:212], v[106:107], s[2:3], v[166:167]
	v_add_f64 v[213:214], v[78:79], v[227:228]
	v_add_f64 v[84:85], v[72:73], v[80:81]
	v_add_f64 v[72:73], v[74:75], v[88:89]
	v_add_f64 v[86:87], v[68:69], v[90:91]
	v_add_f64 v[68:69], v[70:71], v[93:94]
	v_fma_f64 v[166:167], v[106:107], s[6:7], v[166:167]
	s_waitcnt vmcnt(2)
	v_add_f64 v[225:226], v[22:23], -v[10:11]
	v_add_f64 v[110:111], v[249:250], v[110:111]
	v_add_f64 v[108:109], v[253:254], v[108:109]
	s_waitcnt vmcnt(1)
	v_add_f64 v[229:230], v[30:31], -v[6:7]
	v_fma_f64 v[88:89], v[162:163], s[16:17], v[95:96]
	v_fma_f64 v[74:75], v[162:163], s[16:17], v[97:98]
	;; [unrolled: 1-line block ×7, first 2 shown]
	v_fma_f64 v[118:119], v[251:252], -0.5, v[66:67]
	v_add_f64 v[131:132], v[52:53], -v[48:49]
	v_fma_f64 v[133:134], v[150:151], s[16:17], v[141:142]
	v_add_f64 v[141:142], v[8:9], v[20:21]
	v_fma_f64 v[76:77], v[168:169], s[16:17], v[146:147]
	v_fma_f64 v[146:147], v[114:115], s[16:17], v[197:198]
	;; [unrolled: 1-line block ×3, first 2 shown]
	s_waitcnt vmcnt(0)
	v_add_f64 v[114:115], v[0:1], v[44:45]
	v_fma_f64 v[93:94], v[191:192], s[16:17], v[137:138]
	v_fma_f64 v[95:96], v[191:192], s[16:17], v[139:140]
	;; [unrolled: 1-line block ×5, first 2 shown]
	v_add_f64 v[152:153], v[60:61], -v[52:53]
	v_add_f64 v[156:157], v[16:17], -v[48:49]
	;; [unrolled: 1-line block ×4, first 2 shown]
	v_fma_f64 v[164:165], v[154:155], s[6:7], v[209:210]
	v_fma_f64 v[191:192], v[154:155], s[2:3], v[209:210]
	v_add_f64 v[60:61], v[60:61], v[64:65]
	v_fma_f64 v[70:71], v[168:169], s[16:17], v[135:136]
	v_fma_f64 v[135:136], v[100:101], s[6:7], v[158:159]
	v_add_f64 v[148:149], v[34:35], -v[58:59]
	v_fma_f64 v[150:151], v[199:200], s[2:3], v[201:202]
	v_fma_f64 v[193:194], v[199:200], s[6:7], v[201:202]
	;; [unrolled: 1-line block ×3, first 2 shown]
	v_add_f64 v[64:65], v[62:63], v[66:67]
	v_add_f64 v[66:67], v[62:63], -v[54:55]
	v_fma_f64 v[195:196], v[203:204], s[6:7], v[215:216]
	v_add_f64 v[197:198], v[18:19], -v[50:51]
	v_add_f64 v[56:57], v[56:57], v[207:208]
	v_fma_f64 v[207:208], v[203:204], s[2:3], v[215:216]
	v_add_f64 v[215:216], v[2:3], v[46:47]
	v_fma_f64 v[209:210], v[106:107], s[12:13], v[217:218]
	;; [unrolled: 2-line block ×3, first 2 shown]
	v_add_f64 v[201:202], v[58:59], -v[34:35]
	v_fma_f64 v[211:212], v[243:244], s[2:3], v[205:206]
	v_fma_f64 v[205:206], v[243:244], s[6:7], v[205:206]
	v_add_f64 v[62:63], v[54:55], -v[62:63]
	v_fma_f64 v[221:222], v[131:132], s[6:7], v[118:119]
	v_fma_f64 v[118:119], v[131:132], s[2:3], v[118:119]
	;; [unrolled: 1-line block ×3, first 2 shown]
	v_fma_f64 v[106:107], v[141:142], -0.5, v[40:41]
	v_add_f64 v[141:142], v[46:47], -v[2:3]
	v_fma_f64 v[114:115], v[114:115], -0.5, v[40:41]
	v_mul_f64 v[223:224], v[93:94], s[0:1]
	v_mul_f64 v[93:94], v[93:94], s[14:15]
	v_add_f64 v[58:59], v[58:59], v[213:214]
	v_add_f64 v[213:214], v[0:1], -v[8:9]
	v_add_f64 v[40:41], v[44:45], v[40:41]
	v_fma_f64 v[166:167], v[241:242], s[14:15], v[166:167]
	v_add_f64 v[152:153], v[156:157], v[152:153]
	v_add_f64 v[156:157], v[162:163], v[160:161]
	v_fma_f64 v[160:161], v[199:200], s[12:13], v[164:165]
	v_fma_f64 v[164:165], v[199:200], s[14:15], v[191:192]
	v_add_f64 v[52:53], v[52:53], v[60:61]
	v_mul_f64 v[162:163], v[116:117], s[16:17]
	v_mul_f64 v[116:117], v[116:117], s[6:7]
	;; [unrolled: 1-line block ×3, first 2 shown]
	v_fma_f64 v[150:151], v[154:155], s[12:13], v[150:151]
	v_fma_f64 v[154:155], v[154:155], s[14:15], v[193:194]
	v_mul_f64 v[193:194], v[95:96], s[0:1]
	v_add_f64 v[54:55], v[54:55], v[64:65]
	v_add_f64 v[199:200], v[12:13], v[24:25]
	v_fma_f64 v[60:61], v[131:132], s[14:15], v[195:196]
	v_add_f64 v[64:65], v[197:198], v[66:67]
	v_add_f64 v[66:67], v[148:149], v[104:105]
	v_fma_f64 v[104:105], v[243:244], s[12:13], v[158:159]
	v_add_f64 v[158:159], v[20:21], -v[8:9]
	v_fma_f64 v[195:196], v[215:216], -0.5, v[42:43]
	v_add_f64 v[148:149], v[44:45], -v[0:1]
	v_fma_f64 v[197:198], v[217:218], -0.5, v[42:43]
	v_fma_f64 v[131:132], v[131:132], s[12:13], v[207:208]
	v_add_f64 v[102:103], v[201:202], v[102:103]
	v_fma_f64 v[201:202], v[100:101], s[14:15], v[211:212]
	v_add_f64 v[62:63], v[219:220], v[62:63]
	v_fma_f64 v[207:208], v[203:204], s[12:13], v[221:222]
	v_fma_f64 v[118:119], v[203:204], s[14:15], v[118:119]
	v_add_f64 v[203:204], v[4:5], v[28:29]
	v_add_f64 v[211:212], v[44:45], -v[20:21]
	v_fma_f64 v[99:100], v[100:101], s[12:13], v[205:206]
	v_fma_f64 v[205:206], v[141:142], s[2:3], v[106:107]
	v_add_f64 v[215:216], v[20:21], -v[44:45]
	v_add_f64 v[217:218], v[8:9], -v[0:1]
	v_fma_f64 v[219:220], v[225:226], s[2:3], v[114:115]
	v_fma_f64 v[106:107], v[141:142], s[6:7], v[106:107]
	;; [unrolled: 1-line block ×5, first 2 shown]
	v_add_f64 v[42:43], v[46:47], v[42:43]
	v_fma_f64 v[135:136], v[243:244], s[14:15], v[135:136]
	v_fma_f64 v[137:138], v[156:157], s[16:17], v[160:161]
	;; [unrolled: 1-line block ×3, first 2 shown]
	v_mul_f64 v[164:165], v[139:140], s[0:1]
	v_add_f64 v[48:49], v[48:49], v[52:53]
	v_add_f64 v[52:53], v[14:15], v[26:27]
	v_mul_f64 v[160:161], v[112:113], s[16:17]
	v_fma_f64 v[150:151], v[152:153], s[16:17], v[150:151]
	v_fma_f64 v[162:163], v[146:147], s[2:3], v[162:163]
	v_fma_f64 v[116:117], v[146:147], s[16:17], v[116:117]
	v_fma_f64 v[112:113], v[112:113], s[2:3], -v[191:192]
	v_fma_f64 v[146:147], v[152:153], s[16:17], v[154:155]
	v_fma_f64 v[139:140], v[139:140], s[12:13], -v[193:194]
	v_add_f64 v[50:51], v[50:51], v[54:55]
	v_add_f64 v[54:55], v[6:7], v[30:31]
	v_add_f64 v[152:153], v[46:47], -v[22:23]
	v_add_f64 v[154:155], v[22:23], -v[46:47]
	;; [unrolled: 1-line block ×4, first 2 shown]
	v_fma_f64 v[223:224], v[158:159], s[6:7], v[195:196]
	v_fma_f64 v[227:228], v[148:149], s[2:3], v[197:198]
	;; [unrolled: 1-line block ×3, first 2 shown]
	v_fma_f64 v[199:200], v[199:200], -0.5, v[36:37]
	v_fma_f64 v[64:65], v[64:65], s[16:17], v[131:132]
	v_fma_f64 v[131:132], v[62:63], s[16:17], v[207:208]
	v_add_f64 v[207:208], v[26:27], -v[14:15]
	v_fma_f64 v[203:204], v[203:204], -0.5, v[36:37]
	v_fma_f64 v[62:63], v[62:63], s[16:17], v[118:119]
	v_add_f64 v[118:119], v[213:214], v[211:212]
	v_add_f64 v[36:37], v[28:29], v[36:37]
	v_fma_f64 v[197:198], v[148:149], s[6:7], v[197:198]
	v_fma_f64 v[205:206], v[225:226], s[12:13], v[205:206]
	v_add_f64 v[211:212], v[217:218], v[215:216]
	v_fma_f64 v[213:214], v[141:142], s[14:15], v[219:220]
	v_fma_f64 v[106:107], v[225:226], s[14:15], v[106:107]
	;; [unrolled: 1-line block ×4, first 2 shown]
	v_add_f64 v[46:47], v[28:29], -v[4:5]
	v_add_f64 v[215:216], v[24:25], -v[12:13]
	v_fma_f64 v[97:98], v[108:109], s[16:17], v[97:98]
	v_add_f64 v[217:218], v[4:5], -v[12:13]
	v_fma_f64 v[95:96], v[95:96], s[14:15], -v[164:165]
	v_fma_f64 v[164:165], v[110:111], s[16:17], v[168:169]
	v_add_f64 v[168:169], v[30:31], v[38:39]
	v_fma_f64 v[52:53], v[52:53], -0.5, v[38:39]
	v_mul_f64 v[44:45], v[150:151], s[0:1]
	v_add_f64 v[20:21], v[20:21], v[40:41]
	v_add_f64 v[32:33], v[32:33], v[56:57]
	v_fma_f64 v[133:134], v[133:134], s[6:7], -v[160:161]
	v_mul_f64 v[160:161], v[156:157], s[16:17]
	v_fma_f64 v[110:111], v[110:111], s[16:17], v[166:167]
	v_mul_f64 v[166:167], v[146:147], s[0:1]
	v_fma_f64 v[38:39], v[54:55], -0.5, v[38:39]
	v_mul_f64 v[54:55], v[150:151], s[14:15]
	v_fma_f64 v[150:151], v[108:109], s[16:17], v[209:210]
	v_add_f64 v[152:153], v[191:192], v[152:153]
	v_add_f64 v[154:155], v[193:194], v[154:155]
	v_fma_f64 v[191:192], v[148:149], s[12:13], v[223:224]
	v_fma_f64 v[193:194], v[158:159], s[12:13], v[227:228]
	v_add_f64 v[209:210], v[28:29], -v[24:25]
	v_fma_f64 v[108:109], v[229:230], s[2:3], v[199:200]
	v_fma_f64 v[199:200], v[229:230], s[6:7], v[199:200]
	v_add_f64 v[28:29], v[24:25], -v[28:29]
	v_add_f64 v[223:224], v[12:13], -v[4:5]
	v_fma_f64 v[219:220], v[207:208], s[6:7], v[203:204]
	v_fma_f64 v[203:204], v[207:208], s[2:3], v[203:204]
	v_mul_f64 v[141:142], v[137:138], s[16:17]
	v_add_f64 v[24:25], v[24:25], v[36:37]
	v_fma_f64 v[158:159], v[158:159], s[14:15], v[197:198]
	v_fma_f64 v[56:57], v[118:119], s[16:17], v[205:206]
	v_mul_f64 v[137:138], v[137:138], s[6:7]
	v_fma_f64 v[36:37], v[211:212], s[16:17], v[213:214]
	v_fma_f64 v[106:107], v[118:119], s[16:17], v[106:107]
	v_fma_f64 v[40:41], v[148:149], s[14:15], v[195:196]
	v_fma_f64 v[114:115], v[211:212], s[16:17], v[114:115]
	v_add_f64 v[118:119], v[34:35], v[58:59]
	v_mul_f64 v[34:35], v[64:65], s[0:1]
	v_add_f64 v[58:59], v[30:31], -v[26:27]
	v_add_f64 v[30:31], v[26:27], -v[30:31]
	;; [unrolled: 1-line block ×3, first 2 shown]
	v_add_f64 v[22:23], v[22:23], v[42:43]
	v_add_f64 v[26:27], v[26:27], v[168:169]
	v_add_f64 v[168:169], v[14:15], -v[6:7]
	v_fma_f64 v[42:43], v[46:47], s[6:7], v[52:53]
	v_fma_f64 v[135:136], v[66:67], s[16:17], v[135:136]
	;; [unrolled: 1-line block ×5, first 2 shown]
	v_add_f64 v[101:102], v[16:17], v[48:49]
	v_mul_f64 v[197:198], v[131:132], s[16:17]
	v_fma_f64 v[66:67], v[215:216], s[2:3], v[38:39]
	v_fma_f64 v[38:39], v[215:216], s[6:7], v[38:39]
	;; [unrolled: 1-line block ×3, first 2 shown]
	v_fma_f64 v[131:132], v[131:132], s[2:3], -v[160:161]
	v_fma_f64 v[166:167], v[64:65], s[12:13], -v[166:167]
	v_fma_f64 v[48:49], v[154:155], s[16:17], v[191:192]
	v_fma_f64 v[52:53], v[152:153], s[16:17], v[193:194]
	v_add_f64 v[191:192], v[18:19], v[50:51]
	v_fma_f64 v[193:194], v[60:61], s[12:13], v[44:45]
	v_fma_f64 v[44:45], v[207:208], s[12:13], v[108:109]
	v_add_f64 v[50:51], v[217:218], v[209:210]
	v_fma_f64 v[108:109], v[207:208], s[14:15], v[199:200]
	v_add_f64 v[28:29], v[223:224], v[28:29]
	;; [unrolled: 2-line block ×3, first 2 shown]
	v_add_f64 v[24:25], v[12:13], v[24:25]
	v_fma_f64 v[152:153], v[152:153], s[16:17], v[158:159]
	v_mul_f64 v[158:159], v[56:57], s[0:1]
	v_fma_f64 v[160:161], v[229:230], s[12:13], v[219:220]
	v_mul_f64 v[64:65], v[36:37], s[16:17]
	v_mul_f64 v[201:202], v[106:107], s[0:1]
	v_fma_f64 v[154:155], v[154:155], s[16:17], v[40:41]
	v_mul_f64 v[205:206], v[114:115], s[16:17]
	v_fma_f64 v[141:142], v[62:63], s[2:3], v[141:142]
	v_fma_f64 v[207:208], v[60:61], s[0:1], v[54:55]
	;; [unrolled: 1-line block ×3, first 2 shown]
	v_fma_f64 v[146:147], v[146:147], s[14:15], -v[34:35]
	v_add_f64 v[60:61], v[148:149], v[58:59]
	v_add_f64 v[62:63], v[10:11], v[22:23]
	;; [unrolled: 1-line block ×4, first 2 shown]
	v_fma_f64 v[148:149], v[215:216], s[14:15], v[42:43]
	v_mul_f64 v[168:169], v[56:57], s[14:15]
	v_mul_f64 v[114:115], v[114:115], s[6:7]
	v_add_f64 v[8:9], v[86:87], v[84:85]
	v_add_f64 v[10:11], v[88:89], v[221:222]
	v_add_f64 v[12:13], v[88:89], -v[221:222]
	v_fma_f64 v[156:157], v[156:157], s[6:7], -v[197:198]
	v_fma_f64 v[66:67], v[46:47], s[14:15], v[66:67]
	v_fma_f64 v[38:39], v[46:47], s[12:13], v[38:39]
	;; [unrolled: 1-line block ×3, first 2 shown]
	v_add_f64 v[14:15], v[90:91], -v[162:163]
	v_add_f64 v[16:17], v[90:91], v[162:163]
	v_mul_f64 v[209:210], v[48:49], s[16:17]
	v_mul_f64 v[211:212], v[52:53], s[0:1]
	v_add_f64 v[22:23], v[84:85], -v[86:87]
	v_mul_u32_u24_e32 v103, 0x96, v92
	v_add_f64 v[42:43], v[76:77], v[93:94]
	v_fma_f64 v[84:85], v[50:51], s[16:17], v[44:45]
	v_fma_f64 v[90:91], v[50:51], s[16:17], v[108:109]
	v_add_f64 v[58:59], v[70:71], -v[95:96]
	v_fma_f64 v[88:89], v[28:29], s[16:17], v[199:200]
	v_add_f64 v[199:200], v[0:1], v[203:204]
	v_add_f64 v[162:163], v[4:5], v[24:25]
	;; [unrolled: 1-line block ×3, first 2 shown]
	v_fma_f64 v[158:159], v[152:153], s[12:13], v[158:159]
	v_fma_f64 v[86:87], v[28:29], s[16:17], v[160:161]
	v_fma_f64 v[108:109], v[48:49], s[2:3], -v[64:65]
	v_fma_f64 v[160:161], v[52:53], s[12:13], -v[201:202]
	v_add_f64 v[48:49], v[70:71], v[95:96]
	v_fma_f64 v[201:202], v[154:155], s[2:3], v[205:206]
	v_add_f64 v[52:53], v[76:77], -v[93:94]
	v_add_f64 v[24:25], v[82:83], -v[112:113]
	v_add_f64 v[20:21], v[74:75], v[139:140]
	v_add_f64 v[0:1], v[101:102], v[32:33]
	;; [unrolled: 1-line block ×6, first 2 shown]
	v_fma_f64 v[94:95], v[60:61], s[16:17], v[148:149]
	v_fma_f64 v[168:169], v[152:153], s[0:1], v[168:169]
	;; [unrolled: 1-line block ×3, first 2 shown]
	v_add_f64 v[6:7], v[97:98], v[131:132]
	v_add_f64 v[26:27], v[74:75], -v[139:140]
	v_add_f64 v[28:29], v[110:111], v[166:167]
	v_add_f64 v[34:35], v[150:151], -v[141:142]
	v_fma_f64 v[112:113], v[30:31], s[16:17], v[66:67]
	v_fma_f64 v[205:206], v[30:31], s[16:17], v[38:39]
	;; [unrolled: 1-line block ×3, first 2 shown]
	v_add_f64 v[30:31], v[32:33], -v[101:102]
	v_add_f64 v[32:33], v[164:165], -v[193:194]
	v_fma_f64 v[209:210], v[36:37], s[6:7], -v[209:210]
	v_fma_f64 v[106:107], v[106:107], s[14:15], -v[211:212]
	v_add_f64 v[36:37], v[97:98], -v[131:132]
	v_add_f64 v[38:39], v[110:111], -v[166:167]
	v_add_f64 v[40:41], v[68:69], v[72:73]
	v_add_f64 v[50:51], v[72:73], -v[68:69]
	v_add_f64 v[44:45], v[78:79], v[116:117]
	;; [unrolled: 2-line block ×6, first 2 shown]
	v_add_f64 v[80:81], v[90:91], v[160:161]
	v_add_f64 v[88:89], v[88:89], -v[108:109]
	v_add_f64 v[76:77], v[86:87], v[201:202]
	v_add_f64 v[86:87], v[86:87], -v[201:202]
	v_add_f64 v[90:91], v[90:91], -v[160:161]
	v_add_f64 v[60:61], v[191:192], v[118:119]
	v_add_f64 v[62:63], v[135:136], v[207:208]
	v_lshlrev_b32_e32 v96, 3, v103
	v_add_f64 v[64:65], v[195:196], v[137:138]
	v_add_f64 v[66:67], v[99:100], v[156:157]
	;; [unrolled: 1-line block ×3, first 2 shown]
	v_add_f64 v[70:71], v[118:119], -v[191:192]
	v_add_f64 v[131:132], v[135:136], -v[207:208]
	;; [unrolled: 1-line block ×5, first 2 shown]
	v_mul_u32_u24_e32 v97, 10, v176
	v_add_nc_u32_e32 v117, 0, v96
	v_add_f64 v[139:140], v[203:204], v[92:93]
	v_add_f64 v[141:142], v[94:95], v[168:169]
	;; [unrolled: 1-line block ×3, first 2 shown]
	v_add_f64 v[152:153], v[92:93], -v[203:204]
	v_lshl_add_u32 v92, v97, 3, v117
	v_add_f64 v[148:149], v[205:206], v[209:210]
	v_mul_i32_i24_e32 v93, 10, v122
	v_add_f64 v[150:151], v[197:198], v[106:107]
	v_add_f64 v[154:155], v[94:95], -v[168:169]
	v_add_f64 v[156:157], v[112:113], -v[114:115]
	;; [unrolled: 1-line block ×4, first 2 shown]
	ds_store_b128 v92, v[8:11]
	ds_store_b128 v92, v[16:19] offset:16
	v_mul_i32_i24_e32 v8, 10, v123
	v_lshl_add_u32 v93, v93, 3, v117
	ds_store_b128 v92, v[20:23] offset:32
	ds_store_b128 v92, v[12:15] offset:48
	;; [unrolled: 1-line block ×3, first 2 shown]
	v_lshlrev_b32_e32 v95, 2, v176
	v_lshl_add_u32 v94, v8, 3, v117
	ds_store_b128 v93, v[0:3]
	ds_store_b128 v93, v[4:7] offset:16
	ds_store_b128 v93, v[28:31] offset:32
	;; [unrolled: 1-line block ×4, first 2 shown]
	ds_store_b128 v94, v[72:75]
	ds_store_b128 v94, v[76:79] offset:16
	v_lshlrev_b32_e32 v0, 3, v176
	ds_store_b128 v94, v[80:83] offset:32
	ds_store_b128 v94, v[84:87] offset:48
	;; [unrolled: 1-line block ×3, first 2 shown]
	s_waitcnt lgkmcnt(0)
	s_waitcnt_vscnt null, 0x0
	v_add3_u32 v195, 0, v0, v96
	v_dual_mov_b32 v96, 0 :: v_dual_add_nc_u32 v191, v117, v0
	v_lshl_add_u32 v196, v123, 3, v117
	v_lshl_add_u32 v192, v127, 3, v117
	;; [unrolled: 1-line block ×9, first 2 shown]
	s_barrier
	buffer_gl0_inv
	ds_load_2addr_b64 v[32:35], v195 offset0:60 offset1:65
	ds_load_2addr_b64 v[24:27], v195 offset0:90 offset1:95
	;; [unrolled: 1-line block ×3, first 2 shown]
	ds_load_b64 v[107:108], v191
	ds_load_b64 v[115:116], v192
	;; [unrolled: 1-line block ×4, first 2 shown]
	ds_load_2addr_b64 v[36:39], v195 offset0:70 offset1:75
	ds_load_2addr_b64 v[28:31], v195 offset0:100 offset1:105
	;; [unrolled: 1-line block ×3, first 2 shown]
	ds_load_b64 v[103:104], v196
	ds_load_b64 v[111:112], v197
	;; [unrolled: 1-line block ×4, first 2 shown]
	ds_load_2addr_b64 v[8:11], v195 offset0:80 offset1:85
	ds_load_2addr_b64 v[4:7], v195 offset0:110 offset1:115
	;; [unrolled: 1-line block ×3, first 2 shown]
	ds_load_b64 v[99:100], v166
	ds_load_b64 v[97:98], v167
	ds_load_2addr_b64 v[16:19], v195 offset0:50 offset1:55
	s_waitcnt lgkmcnt(0)
	s_barrier
	buffer_gl0_inv
	ds_store_b128 v92, v[40:43]
	ds_store_b128 v92, v[44:47] offset:16
	ds_store_b128 v92, v[48:51] offset:32
	;; [unrolled: 1-line block ×4, first 2 shown]
	v_lshlrev_b64 v[40:41], 4, v[95:96]
	v_lshlrev_b32_e32 v95, 2, v122
	ds_store_b128 v93, v[60:63]
	ds_store_b128 v93, v[64:67] offset:16
	ds_store_b128 v93, v[68:71] offset:32
	ds_store_b128 v93, v[131:134] offset:48
	ds_store_b128 v93, v[135:138] offset:64
	ds_store_b128 v94, v[139:142]
	ds_store_b128 v94, v[146:149] offset:16
	ds_store_b128 v94, v[150:153] offset:32
	ds_store_b128 v94, v[154:157] offset:48
	ds_store_b128 v94, v[158:161] offset:64
	s_waitcnt lgkmcnt(0)
	s_barrier
	v_lshlrev_b64 v[42:43], 4, v[95:96]
	v_add_co_u32 v60, s0, s4, v40
	s_delay_alu instid0(VALU_DEP_1) | instskip(SKIP_2) | instid1(VALU_DEP_1)
	v_add_co_ci_u32_e64 v61, s0, s5, v41, s0
	buffer_gl0_inv
	v_add_co_u32 v72, s0, s4, v42
	v_add_co_ci_u32_e64 v73, s0, s5, v43, s0
	s_clause 0x3
	global_load_b128 v[48:51], v[60:61], off offset:16
	global_load_b128 v[52:55], v[72:73], off offset:16
	;; [unrolled: 1-line block ×4, first 2 shown]
	v_and_b32_e32 v56, 0xff, v125
	v_and_b32_e32 v57, 0xff, v126
	global_load_b128 v[64:67], v[60:61], off offset:48
	v_mul_lo_u16 v56, 0xcd, v56
	v_mul_lo_u16 v62, 0xcd, v57
	s_delay_alu instid0(VALU_DEP_2) | instskip(NEXT) | instid1(VALU_DEP_2)
	v_lshrrev_b16 v63, 11, v56
	v_lshrrev_b16 v62, 11, v62
	global_load_b128 v[56:59], v[72:73], off offset:48
	v_mul_lo_u16 v63, v63, 10
	v_mul_lo_u16 v68, v62, 10
	s_delay_alu instid0(VALU_DEP_2) | instskip(SKIP_3) | instid1(VALU_DEP_2)
	v_sub_nc_u16 v69, v125, v63
	global_load_b128 v[60:63], v[60:61], off
	v_sub_nc_u16 v68, v126, v68
	v_and_b32_e32 v119, 0xff, v69
	v_and_b32_e32 v118, 0xff, v68
	s_delay_alu instid0(VALU_DEP_2) | instskip(NEXT) | instid1(VALU_DEP_2)
	v_lshlrev_b32_e32 v88, 6, v119
	v_lshlrev_b32_e32 v120, 6, v118
	s_clause 0x8
	global_load_b128 v[68:71], v88, s[4:5]
	global_load_b128 v[76:79], v120, s[4:5]
	global_load_b128 v[72:75], v[72:73], off
	global_load_b128 v[84:87], v88, s[4:5] offset:16
	global_load_b128 v[80:83], v88, s[4:5] offset:32
	;; [unrolled: 1-line block ×6, first 2 shown]
	ds_load_2addr_b64 v[139:142], v195 offset0:60 offset1:65
	ds_load_2addr_b64 v[146:149], v195 offset0:70 offset1:75
	;; [unrolled: 1-line block ×6, first 2 shown]
	ds_load_b64 v[222:223], v192
	ds_load_2addr_b64 v[200:203], v195 offset0:50 offset1:55
	ds_load_b64 v[228:229], v197
	ds_load_2addr_b64 v[204:207], v195 offset0:80 offset1:85
	ds_load_b64 v[234:235], v194
	ds_load_b64 v[236:237], v193
	;; [unrolled: 1-line block ×3, first 2 shown]
	s_waitcnt vmcnt(15) lgkmcnt(12)
	v_mul_f64 v[168:169], v[139:140], v[50:51]
	s_waitcnt vmcnt(14)
	v_mul_f64 v[208:209], v[141:142], v[54:55]
	v_mul_f64 v[210:211], v[32:33], v[50:51]
	;; [unrolled: 1-line block ×3, first 2 shown]
	s_waitcnt lgkmcnt(11)
	v_mul_f64 v[214:215], v[146:147], v[50:51]
	v_mul_f64 v[50:51], v[36:37], v[50:51]
	;; [unrolled: 1-line block ×4, first 2 shown]
	s_waitcnt vmcnt(13) lgkmcnt(10)
	v_mul_f64 v[218:219], v[150:151], v[46:47]
	v_mul_f64 v[224:225], v[24:25], v[46:47]
	s_waitcnt lgkmcnt(9)
	v_mul_f64 v[230:231], v[154:155], v[46:47]
	v_mul_f64 v[232:233], v[28:29], v[46:47]
	s_waitcnt vmcnt(12)
	v_mul_f64 v[220:221], v[152:153], v[42:43]
	v_mul_f64 v[226:227], v[26:27], v[42:43]
	;; [unrolled: 1-line block ×4, first 2 shown]
	s_waitcnt vmcnt(11) lgkmcnt(8)
	v_mul_f64 v[242:243], v[158:159], v[66:67]
	s_waitcnt vmcnt(10)
	v_mul_f64 v[244:245], v[160:161], v[58:59]
	v_mul_f64 v[246:247], v[12:13], v[66:67]
	s_waitcnt lgkmcnt(7)
	v_mul_f64 v[250:251], v[162:163], v[66:67]
	v_mul_f64 v[248:249], v[14:15], v[58:59]
	s_waitcnt vmcnt(9) lgkmcnt(6)
	v_mul_f64 v[183:184], v[222:223], v[62:63]
	v_fma_f64 v[168:169], v[32:33], v[48:49], -v[168:169]
	v_fma_f64 v[252:253], v[34:35], v[52:53], -v[208:209]
	v_mul_f64 v[34:35], v[20:21], v[66:67]
	v_mul_f64 v[66:67], v[164:165], v[58:59]
	v_fma_f64 v[254:255], v[139:140], v[48:49], v[210:211]
	v_fma_f64 v[212:213], v[141:142], v[52:53], v[212:213]
	v_fma_f64 v[214:215], v[36:37], v[48:49], -v[214:215]
	v_fma_f64 v[146:147], v[146:147], v[48:49], v[50:51]
	v_fma_f64 v[46:47], v[38:39], v[52:53], -v[216:217]
	v_fma_f64 v[32:33], v[148:149], v[52:53], v[54:55]
	v_mul_f64 v[38:39], v[115:116], v[62:63]
	v_mul_f64 v[48:49], v[22:23], v[58:59]
	v_fma_f64 v[58:59], v[24:25], v[44:45], -v[218:219]
	s_waitcnt vmcnt(8) lgkmcnt(5)
	v_mul_f64 v[52:53], v[200:201], v[70:71]
	v_mul_f64 v[54:55], v[16:17], v[70:71]
	v_fma_f64 v[70:71], v[150:151], v[44:45], v[224:225]
	v_fma_f64 v[218:219], v[28:29], v[44:45], -v[230:231]
	v_fma_f64 v[154:155], v[154:155], v[44:45], v[232:233]
	s_waitcnt vmcnt(6) lgkmcnt(2)
	v_mul_f64 v[28:29], v[234:235], v[74:75]
	v_mul_f64 v[44:45], v[109:110], v[74:75]
	v_fma_f64 v[216:217], v[26:27], v[40:41], -v[220:221]
	v_mul_f64 v[220:221], v[228:229], v[62:63]
	v_mul_f64 v[62:63], v[111:112], v[62:63]
	v_fma_f64 v[24:25], v[156:157], v[40:41], v[42:43]
	v_fma_f64 v[156:157], v[12:13], v[64:65], -v[242:243]
	v_fma_f64 v[224:225], v[14:15], v[56:57], -v[244:245]
	v_fma_f64 v[158:159], v[158:159], v[64:65], v[246:247]
	v_fma_f64 v[230:231], v[20:21], v[64:65], -v[250:251]
	ds_load_2addr_b64 v[139:142], v195 offset0:110 offset1:115
	ds_load_2addr_b64 v[208:211], v195 offset0:140 offset1:145
	ds_load_b64 v[36:37], v199
	ds_load_b64 v[50:51], v198
	;; [unrolled: 1-line block ×3, first 2 shown]
	v_fma_f64 v[150:151], v[152:153], v[40:41], v[226:227]
	v_mul_f64 v[152:153], v[202:203], v[78:79]
	v_mul_f64 v[78:79], v[18:19], v[78:79]
	v_fma_f64 v[26:27], v[30:31], v[40:41], -v[238:239]
	v_mul_f64 v[42:43], v[113:114], v[74:75]
	v_fma_f64 v[160:161], v[160:161], v[56:57], v[248:249]
	v_fma_f64 v[14:15], v[162:163], v[64:65], v[34:35]
	v_fma_f64 v[64:65], v[115:116], v[60:61], -v[183:184]
	v_fma_f64 v[12:13], v[22:23], v[56:57], -v[66:67]
	s_waitcnt vmcnt(4)
	v_mul_f64 v[34:35], v[4:5], v[82:83]
	s_waitcnt lgkmcnt(2)
	v_mul_f64 v[40:41], v[36:37], v[74:75]
	v_mul_f64 v[74:75], v[204:205], v[86:87]
	;; [unrolled: 1-line block ×3, first 2 shown]
	s_waitcnt vmcnt(3)
	v_mul_f64 v[66:67], v[208:209], v[94:95]
	v_mul_f64 v[82:83], v[0:1], v[94:95]
	s_waitcnt vmcnt(2)
	v_mul_f64 v[94:95], v[206:207], v[90:91]
	v_mul_f64 v[90:91], v[10:11], v[90:91]
	;; [unrolled: 3-line block ×3, first 2 shown]
	v_fma_f64 v[162:163], v[222:223], v[60:61], v[38:39]
	v_fma_f64 v[109:110], v[109:110], v[72:73], -v[28:29]
	v_fma_f64 v[20:21], v[164:165], v[56:57], v[48:49]
	v_fma_f64 v[56:57], v[234:235], v[72:73], v[44:45]
	s_waitcnt vmcnt(0)
	v_mul_f64 v[183:184], v[210:211], v[137:138]
	v_fma_f64 v[38:39], v[16:17], v[68:69], -v[52:53]
	v_fma_f64 v[28:29], v[200:201], v[68:69], v[54:55]
	v_fma_f64 v[54:55], v[111:112], v[60:61], -v[220:221]
	v_fma_f64 v[60:61], v[228:229], v[60:61], v[62:63]
	v_add_f64 v[68:69], v[254:255], v[70:71]
	v_mul_f64 v[86:87], v[8:9], v[86:87]
	v_add_f64 v[52:53], v[168:169], v[58:59]
	v_add_f64 v[200:201], v[214:215], v[218:219]
	v_fma_f64 v[30:31], v[18:19], v[76:77], -v[152:153]
	v_fma_f64 v[22:23], v[202:203], v[76:77], v[78:79]
	v_mul_f64 v[137:138], v[2:3], v[137:138]
	v_fma_f64 v[44:45], v[36:37], v[72:73], v[42:43]
	v_add_f64 v[242:243], v[212:213], -v[150:151]
	v_add_f64 v[238:239], v[252:253], -v[216:217]
	;; [unrolled: 1-line block ×5, first 2 shown]
	v_add_f64 v[62:63], v[64:65], v[156:157]
	v_add_f64 v[78:79], v[168:169], -v[64:65]
	v_fma_f64 v[48:49], v[113:114], v[72:73], -v[40:41]
	v_fma_f64 v[40:41], v[8:9], v[84:85], -v[74:75]
	;; [unrolled: 1-line block ×3, first 2 shown]
	v_fma_f64 v[8:9], v[139:140], v[80:81], v[34:35]
	v_fma_f64 v[4:5], v[0:1], v[92:93], -v[66:67]
	v_fma_f64 v[0:1], v[208:209], v[92:93], v[82:83]
	v_fma_f64 v[42:43], v[10:11], v[88:89], -v[94:95]
	v_fma_f64 v[34:35], v[206:207], v[88:89], v[90:91]
	v_fma_f64 v[10:11], v[141:142], v[131:132], v[133:134]
	v_add_f64 v[74:75], v[107:108], v[64:65]
	v_add_f64 v[76:77], v[240:241], v[162:163]
	;; [unrolled: 1-line block ×8, first 2 shown]
	v_fma_f64 v[18:19], v[6:7], v[131:132], -v[115:116]
	v_fma_f64 v[6:7], v[2:3], v[135:136], -v[183:184]
	v_add_f64 v[66:67], v[64:65], -v[168:169]
	v_add_f64 v[72:73], v[156:157], -v[58:59]
	v_add_f64 v[152:153], v[56:57], v[160:161]
	v_add_f64 v[183:184], v[103:104], v[54:55]
	v_add_f64 v[208:209], v[254:255], -v[70:71]
	v_add_f64 v[64:65], v[64:65], -v[156:157]
	v_fma_f64 v[68:69], v[68:69], -0.5, v[240:241]
	v_fma_f64 v[36:37], v[204:205], v[84:85], v[86:87]
	v_add_f64 v[84:85], v[162:163], -v[254:255]
	v_add_f64 v[86:87], v[158:159], -v[70:71]
	;; [unrolled: 1-line block ×4, first 2 shown]
	v_fma_f64 v[62:63], v[62:63], -0.5, v[107:108]
	v_fma_f64 v[220:221], v[52:53], -0.5, v[107:108]
	v_add_f64 v[107:108], v[168:169], -v[58:59]
	v_add_f64 v[109:110], v[109:110], -v[224:225]
	v_add_f64 v[94:95], v[254:255], -v[162:163]
	v_add_f64 v[162:163], v[162:163], -v[158:159]
	v_add_f64 v[131:132], v[224:225], -v[216:217]
	v_add_f64 v[202:203], v[54:55], v[230:231]
	v_add_f64 v[232:233], v[56:57], -v[160:161]
	v_add_f64 v[80:81], v[58:59], -v[156:157]
	v_add_f64 v[244:245], v[60:61], v[14:15]
	v_add_f64 v[248:249], v[60:61], -v[14:15]
	v_fma_f64 v[200:201], v[200:201], -0.5, v[103:104]
	v_fma_f64 v[2:3], v[210:211], v[135:136], v[137:138]
	v_add_f64 v[135:136], v[216:217], -v[224:225]
	v_add_f64 v[137:138], v[56:57], -v[212:213]
	v_add_f64 v[74:75], v[74:75], v[168:169]
	v_add_f64 v[76:77], v[76:77], v[254:255]
	v_fma_f64 v[82:83], v[82:83], -0.5, v[240:241]
	v_add_f64 v[88:89], v[88:89], v[252:253]
	v_fma_f64 v[92:93], v[92:93], -0.5, v[105:106]
	;; [unrolled: 2-line block ×3, first 2 shown]
	v_fma_f64 v[90:91], v[90:91], -0.5, v[105:106]
	v_add_f64 v[240:241], v[146:147], v[154:155]
	v_add_f64 v[139:140], v[160:161], -v[150:151]
	v_add_f64 v[164:165], v[212:213], -v[56:57]
	v_add_f64 v[66:67], v[66:67], v[72:73]
	v_fma_f64 v[152:153], v[152:153], -0.5, v[236:237]
	v_add_f64 v[183:184], v[183:184], v[214:215]
	v_add_f64 v[228:229], v[60:61], -v[146:147]
	s_waitcnt lgkmcnt(0)
	v_add_f64 v[246:247], v[148:149], v[60:61]
	v_fma_f64 v[252:253], v[64:65], s[6:7], v[68:69]
	v_add_f64 v[56:57], v[146:147], -v[60:61]
	v_add_f64 v[60:61], v[46:47], v[26:27]
	v_add_f64 v[84:85], v[84:85], v[86:87]
	v_fma_f64 v[68:69], v[64:65], s[2:3], v[68:69]
	v_add_f64 v[105:106], v[48:49], v[12:13]
	v_fma_f64 v[72:73], v[208:209], s[6:7], v[62:63]
	v_fma_f64 v[62:63], v[208:209], s[2:3], v[62:63]
	v_add_f64 v[204:205], v[150:151], -v[160:161]
	v_add_f64 v[206:207], v[54:55], -v[214:215]
	;; [unrolled: 1-line block ×3, first 2 shown]
	v_fma_f64 v[236:237], v[162:163], s[2:3], v[220:221]
	v_fma_f64 v[220:221], v[162:163], s[6:7], v[220:221]
	v_fma_f64 v[103:104], v[202:203], -0.5, v[103:104]
	v_add_f64 v[115:116], v[115:116], v[131:132]
	v_add_f64 v[222:223], v[214:215], -v[54:55]
	v_add_f64 v[52:53], v[214:215], -v[218:219]
	v_add_f64 v[214:215], v[32:33], v[24:25]
	v_add_f64 v[78:79], v[78:79], v[80:81]
	v_add_f64 v[226:227], v[218:219], -v[230:231]
	v_add_f64 v[54:55], v[54:55], -v[230:231]
	v_add_f64 v[94:95], v[94:95], v[111:112]
	v_add_f64 v[58:59], v[74:75], v[58:59]
	;; [unrolled: 1-line block ×3, first 2 shown]
	v_fma_f64 v[86:87], v[107:108], s[2:3], v[82:83]
	v_fma_f64 v[82:83], v[107:108], s[6:7], v[82:83]
	v_add_f64 v[74:75], v[88:89], v[216:217]
	v_add_f64 v[76:77], v[113:114], v[150:151]
	v_fma_f64 v[88:89], v[242:243], s[6:7], v[92:93]
	v_fma_f64 v[92:93], v[242:243], s[2:3], v[92:93]
	;; [unrolled: 1-line block ×6, first 2 shown]
	v_fma_f64 v[240:241], v[240:241], -0.5, v[148:149]
	v_fma_f64 v[148:149], v[244:245], -0.5, v[148:149]
	v_add_f64 v[150:151], v[183:184], v[218:219]
	v_fma_f64 v[183:184], v[238:239], s[2:3], v[152:153]
	v_fma_f64 v[152:153], v[238:239], s[6:7], v[152:153]
	;; [unrolled: 1-line block ×4, first 2 shown]
	v_add_f64 v[111:112], v[44:45], -v[20:21]
	v_add_f64 v[133:134], v[133:134], v[135:136]
	v_add_f64 v[137:138], v[137:138], v[139:140]
	v_fma_f64 v[72:73], v[162:163], s[12:13], v[72:73]
	v_fma_f64 v[62:63], v[162:163], s[14:15], v[62:63]
	v_fma_f64 v[162:163], v[107:108], s[14:15], v[252:253]
	v_fma_f64 v[68:69], v[107:108], s[12:13], v[68:69]
	v_add_f64 v[146:147], v[246:247], v[146:147]
	v_fma_f64 v[60:61], v[60:61], -0.5, v[101:102]
	v_add_f64 v[254:255], v[44:45], v[20:21]
	v_add_f64 v[80:81], v[40:41], v[16:17]
	v_fma_f64 v[236:237], v[208:209], s[12:13], v[236:237]
	v_fma_f64 v[208:209], v[208:209], s[14:15], v[220:221]
	v_add_f64 v[252:253], v[38:39], v[4:5]
	v_add_f64 v[135:136], v[32:33], -v[24:25]
	v_add_f64 v[244:245], v[101:102], v[48:49]
	v_fma_f64 v[218:219], v[250:251], s[6:7], v[103:104]
	v_fma_f64 v[101:102], v[105:106], -0.5, v[101:102]
	v_add_f64 v[220:221], v[50:51], v[44:45]
	v_add_f64 v[139:140], v[164:165], v[204:205]
	;; [unrolled: 1-line block ×3, first 2 shown]
	v_fma_f64 v[86:87], v[64:65], s[14:15], v[86:87]
	v_fma_f64 v[64:65], v[64:65], s[12:13], v[82:83]
	v_add_f64 v[58:59], v[58:59], v[156:157]
	v_add_f64 v[70:71], v[70:71], v[158:159]
	v_fma_f64 v[88:89], v[232:233], s[12:13], v[88:89]
	v_fma_f64 v[92:93], v[232:233], s[14:15], v[92:93]
	;; [unrolled: 1-line block ×6, first 2 shown]
	v_add_f64 v[210:211], v[42:43], v[18:19]
	v_fma_f64 v[206:207], v[52:53], s[2:3], v[148:149]
	v_fma_f64 v[148:149], v[52:53], s[6:7], v[148:149]
	;; [unrolled: 1-line block ×6, first 2 shown]
	v_add_f64 v[200:201], v[48:49], -v[12:13]
	v_add_f64 v[216:217], v[30:31], v[6:7]
	v_add_f64 v[168:169], v[154:155], -v[14:15]
	v_fma_f64 v[72:73], v[78:79], s[16:17], v[72:73]
	v_fma_f64 v[62:63], v[78:79], s[16:17], v[62:63]
	;; [unrolled: 1-line block ×3, first 2 shown]
	v_fma_f64 v[162:163], v[214:215], -0.5, v[50:51]
	v_add_f64 v[82:83], v[222:223], v[226:227]
	v_fma_f64 v[105:106], v[54:55], s[6:7], v[240:241]
	v_fma_f64 v[204:205], v[54:55], s[2:3], v[240:241]
	;; [unrolled: 1-line block ×3, first 2 shown]
	v_add_f64 v[226:227], v[34:35], v[10:11]
	v_add_f64 v[212:213], v[48:49], -v[46:47]
	v_add_f64 v[202:203], v[12:13], -v[26:27]
	v_add_f64 v[74:75], v[74:75], v[224:225]
	v_fma_f64 v[183:184], v[66:67], s[16:17], v[236:237]
	v_fma_f64 v[66:67], v[66:67], s[16:17], v[208:209]
	v_add_f64 v[208:209], v[46:47], -v[26:27]
	v_fma_f64 v[50:51], v[254:255], -0.5, v[50:51]
	v_fma_f64 v[80:81], v[80:81], -0.5, v[99:100]
	;; [unrolled: 1-line block ×3, first 2 shown]
	v_fma_f64 v[84:85], v[94:95], s[16:17], v[86:87]
	v_fma_f64 v[64:65], v[94:95], s[16:17], v[64:65]
	v_add_f64 v[94:95], v[146:147], v[154:155]
	v_add_f64 v[146:147], v[36:37], v[8:9]
	v_fma_f64 v[154:155], v[111:112], s[2:3], v[60:61]
	v_fma_f64 v[60:61], v[111:112], s[6:7], v[60:61]
	;; [unrolled: 1-line block ×4, first 2 shown]
	v_add_f64 v[133:134], v[28:29], v[0:1]
	v_fma_f64 v[113:114], v[137:138], s[16:17], v[113:114]
	v_fma_f64 v[137:138], v[137:138], s[16:17], v[141:142]
	v_add_f64 v[141:142], v[22:23], v[2:3]
	v_add_f64 v[86:87], v[28:29], -v[0:1]
	v_add_f64 v[99:100], v[99:100], v[38:39]
	v_add_f64 v[76:77], v[76:77], v[160:161]
	;; [unrolled: 1-line block ×3, first 2 shown]
	v_fma_f64 v[160:161], v[248:249], s[12:13], v[218:219]
	v_fma_f64 v[131:132], v[115:116], s[16:17], v[131:132]
	;; [unrolled: 1-line block ×4, first 2 shown]
	v_add_f64 v[48:49], v[46:47], -v[48:49]
	v_add_f64 v[214:215], v[26:27], -v[12:13]
	v_fma_f64 v[101:102], v[135:136], s[2:3], v[101:102]
	v_add_f64 v[46:47], v[244:245], v[46:47]
	v_add_f64 v[218:219], v[44:45], -v[32:33]
	v_add_f64 v[222:223], v[20:21], -v[24:25]
	;; [unrolled: 1-line block ×3, first 2 shown]
	v_fma_f64 v[232:233], v[139:140], s[16:17], v[156:157]
	v_fma_f64 v[109:110], v[139:140], s[16:17], v[109:110]
	;; [unrolled: 1-line block ×4, first 2 shown]
	v_add_f64 v[148:149], v[220:221], v[32:33]
	v_add_f64 v[32:33], v[32:33], -v[44:45]
	v_fma_f64 v[44:45], v[200:201], s[6:7], v[162:163]
	v_fma_f64 v[156:157], v[200:201], s[2:3], v[162:163]
	v_fma_f64 v[210:211], v[210:211], -0.5, v[97:98]
	v_add_f64 v[220:221], v[22:23], -v[2:3]
	v_add_f64 v[236:237], v[97:98], v[30:31]
	v_fma_f64 v[97:98], v[216:217], -0.5, v[97:98]
	v_add_f64 v[216:217], v[34:35], -v[10:11]
	v_add_f64 v[107:108], v[228:229], v[234:235]
	ds_load_b64 v[228:229], v166
	v_add_f64 v[56:57], v[56:57], v[168:169]
	ds_load_b64 v[168:169], v167
	v_fma_f64 v[103:104], v[250:251], s[2:3], v[103:104]
	v_fma_f64 v[105:106], v[52:53], s[14:15], v[105:106]
	;; [unrolled: 1-line block ×3, first 2 shown]
	v_add_f64 v[162:163], v[24:25], -v[20:21]
	v_add_f64 v[242:243], v[40:41], -v[16:17]
	v_fma_f64 v[154:155], v[135:136], s[12:13], v[154:155]
	v_fma_f64 v[60:61], v[135:136], s[14:15], v[60:61]
	v_add_f64 v[202:203], v[212:213], v[202:203]
	v_add_f64 v[206:207], v[38:39], -v[4:5]
	v_fma_f64 v[212:213], v[208:209], s[2:3], v[50:51]
	v_fma_f64 v[50:51], v[208:209], s[6:7], v[50:51]
	v_add_f64 v[234:235], v[38:39], -v[40:41]
	v_add_f64 v[238:239], v[4:5], -v[16:17]
	v_fma_f64 v[240:241], v[86:87], s[2:3], v[80:81]
	v_add_f64 v[38:39], v[40:41], -v[38:39]
	v_add_f64 v[40:41], v[99:100], v[40:41]
	v_add_f64 v[48:49], v[48:49], v[214:215]
	s_waitcnt lgkmcnt(1)
	v_fma_f64 v[146:147], v[146:147], -0.5, v[228:229]
	v_add_f64 v[204:205], v[228:229], v[28:29]
	v_fma_f64 v[133:134], v[133:134], -0.5, v[228:229]
	s_waitcnt lgkmcnt(0)
	v_fma_f64 v[135:136], v[226:227], -0.5, v[168:169]
	v_add_f64 v[226:227], v[168:169], v[22:23]
	v_add_f64 v[228:229], v[30:31], -v[6:7]
	v_fma_f64 v[141:142], v[141:142], -0.5, v[168:169]
	v_add_f64 v[168:169], v[42:43], -v[18:19]
	v_fma_f64 v[115:116], v[111:112], s[12:13], v[115:116]
	v_fma_f64 v[101:102], v[111:112], s[14:15], v[101:102]
	v_add_f64 v[26:27], v[46:47], v[26:27]
	v_add_f64 v[46:47], v[218:219], v[222:223]
	v_add_f64 v[111:112], v[16:17], -v[4:5]
	v_fma_f64 v[214:215], v[230:231], s[6:7], v[224:225]
	v_fma_f64 v[218:219], v[230:231], s[2:3], v[224:225]
	;; [unrolled: 1-line block ×5, first 2 shown]
	v_add_f64 v[24:25], v[148:149], v[24:25]
	v_add_f64 v[99:100], v[28:29], -v[36:37]
	v_add_f64 v[148:149], v[0:1], -v[8:9]
	;; [unrolled: 1-line block ×4, first 2 shown]
	v_fma_f64 v[224:225], v[220:221], s[2:3], v[210:211]
	v_add_f64 v[236:237], v[236:237], v[42:43]
	v_add_f64 v[30:31], v[42:43], -v[30:31]
	v_add_f64 v[42:43], v[18:19], -v[6:7]
	v_fma_f64 v[244:245], v[216:217], s[6:7], v[97:98]
	v_fma_f64 v[97:98], v[216:217], s[2:3], v[97:98]
	;; [unrolled: 1-line block ×4, first 2 shown]
	v_add_f64 v[32:33], v[32:33], v[162:163]
	v_add_f64 v[28:29], v[36:37], -v[28:29]
	v_add_f64 v[248:249], v[22:23], -v[34:35]
	;; [unrolled: 1-line block ×4, first 2 shown]
	v_fma_f64 v[212:213], v[200:201], s[14:15], v[212:213]
	v_fma_f64 v[50:51], v[200:201], s[12:13], v[50:51]
	v_add_f64 v[200:201], v[234:235], v[238:239]
	v_add_f64 v[162:163], v[204:205], v[36:37]
	v_add_f64 v[36:37], v[8:9], -v[0:1]
	v_fma_f64 v[246:247], v[242:243], s[2:3], v[133:134]
	v_fma_f64 v[133:134], v[242:243], s[6:7], v[133:134]
	v_add_f64 v[226:227], v[226:227], v[34:35]
	v_fma_f64 v[252:253], v[228:229], s[6:7], v[135:136]
	v_fma_f64 v[135:136], v[228:229], s[2:3], v[135:136]
	v_add_f64 v[34:35], v[10:11], -v[2:3]
	v_fma_f64 v[254:255], v[168:169], s[2:3], v[141:142]
	v_fma_f64 v[141:142], v[168:169], s[6:7], v[141:142]
	;; [unrolled: 1-line block ×3, first 2 shown]
	v_add_f64 v[16:17], v[40:41], v[16:17]
	v_add_f64 v[38:39], v[38:39], v[111:112]
	v_fma_f64 v[111:112], v[86:87], s[12:13], v[214:215]
	v_fma_f64 v[40:41], v[86:87], s[14:15], v[218:219]
	;; [unrolled: 1-line block ×5, first 2 shown]
	v_add_f64 v[94:95], v[94:95], v[14:15]
	v_add_f64 v[86:87], v[99:100], v[148:149]
	;; [unrolled: 1-line block ×4, first 2 shown]
	v_fma_f64 v[148:149], v[216:217], s[12:13], v[224:225]
	v_add_f64 v[18:19], v[236:237], v[18:19]
	v_fma_f64 v[14:15], v[202:203], s[16:17], v[154:155]
	v_add_f64 v[30:31], v[30:31], v[42:43]
	v_fma_f64 v[42:43], v[220:221], s[12:13], v[244:245]
	v_fma_f64 v[97:98], v[220:221], s[14:15], v[97:98]
	v_fma_f64 v[208:209], v[216:217], s[14:15], v[210:211]
	v_fma_f64 v[160:161], v[82:83], s[16:17], v[160:161]
	v_fma_f64 v[82:83], v[82:83], s[16:17], v[103:104]
	v_fma_f64 v[103:104], v[107:108], s[16:17], v[105:106]
	v_fma_f64 v[105:106], v[56:57], s[16:17], v[139:140]
	v_fma_f64 v[54:55], v[56:57], s[16:17], v[54:55]
	v_fma_f64 v[26:27], v[202:203], s[16:17], v[60:61]
	v_fma_f64 v[56:57], v[48:49], s[16:17], v[115:116]
	v_fma_f64 v[48:49], v[48:49], s[16:17], v[101:102]
	v_fma_f64 v[152:153], v[164:165], s[16:17], v[152:153]
	v_add_f64 v[8:9], v[162:163], v[8:9]
	v_add_f64 v[28:29], v[28:29], v[36:37]
	v_fma_f64 v[36:37], v[206:207], s[14:15], v[246:247]
	v_fma_f64 v[133:134], v[206:207], s[12:13], v[133:134]
	v_add_f64 v[162:163], v[248:249], v[250:251]
	v_fma_f64 v[206:207], v[168:169], s[14:15], v[252:253]
	v_fma_f64 v[135:136], v[168:169], s[12:13], v[135:136]
	v_add_f64 v[10:11], v[226:227], v[10:11]
	v_add_f64 v[22:23], v[22:23], v[34:35]
	v_fma_f64 v[34:35], v[228:229], s[14:15], v[254:255]
	v_fma_f64 v[141:142], v[228:229], s[12:13], v[141:142]
	v_add_f64 v[4:5], v[16:17], v[4:5]
	v_fma_f64 v[16:17], v[200:201], s[16:17], v[234:235]
	v_add_f64 v[60:61], v[24:25], v[20:21]
	v_fma_f64 v[24:25], v[38:39], s[16:17], v[111:112]
	v_fma_f64 v[38:39], v[38:39], s[16:17], v[40:41]
	v_fma_f64 v[20:21], v[200:201], s[16:17], v[80:81]
	v_fma_f64 v[158:159], v[164:165], s[16:17], v[158:159]
	v_fma_f64 v[204:205], v[242:243], s[14:15], v[204:205]
	v_fma_f64 v[146:147], v[242:243], s[12:13], v[146:147]
	s_barrier
	buffer_gl0_inv
	v_add_f64 v[6:7], v[18:19], v[6:7]
	v_fma_f64 v[18:19], v[99:100], s[16:17], v[148:149]
	ds_store_2addr_b64 v195, v[58:59], v[183:184] offset1:10
	ds_store_2addr_b64 v195, v[72:73], v[62:63] offset0:20 offset1:30
	ds_store_b64 v195, v[66:67] offset:320
	ds_store_2addr_b64 v193, v[74:75], v[131:132] offset1:10
	v_fma_f64 v[42:43], v[30:31], s[16:17], v[42:43]
	v_fma_f64 v[30:31], v[30:31], s[16:17], v[97:98]
	;; [unrolled: 1-line block ×3, first 2 shown]
	v_lshl_add_u32 v59, v119, 3, v117
	v_lshl_add_u32 v58, v121, 3, v117
	ds_store_2addr_b64 v193, v[88:89], v[92:93] offset0:20 offset1:30
	ds_store_b64 v193, v[90:91] offset:320
	ds_store_2addr_b64 v195, v[150:151], v[152:153] offset0:50 offset1:60
	ds_store_b64 v195, v[160:161] offset:560
	ds_store_b64 v58, v[82:83]
	ds_store_b64 v195, v[158:159] offset:720
	ds_store_2addr_b64 v193, v[12:13], v[14:15] offset0:50 offset1:60
	ds_store_2addr_b64 v193, v[56:57], v[48:49] offset0:70 offset1:80
	v_lshl_add_u32 v48, v118, 3, v117
	v_fma_f64 v[52:53], v[107:108], s[16:17], v[52:53]
	v_fma_f64 v[44:45], v[46:47], s[16:17], v[44:45]
	;; [unrolled: 1-line block ×5, first 2 shown]
	v_add_f64 v[97:98], v[8:9], v[0:1]
	v_fma_f64 v[101:102], v[28:29], s[16:17], v[36:37]
	v_fma_f64 v[107:108], v[28:29], s[16:17], v[133:134]
	v_add_f64 v[111:112], v[10:11], v[2:3]
	v_fma_f64 v[115:116], v[162:163], s[16:17], v[206:207]
	v_fma_f64 v[133:134], v[162:163], s[16:17], v[135:136]
	;; [unrolled: 1-line block ×4, first 2 shown]
	ds_store_b64 v193, v[26:27] offset:720
	ds_store_2addr_b64 v59, v[4:5], v[16:17] offset0:100 offset1:110
	ds_store_2addr_b64 v59, v[24:25], v[38:39] offset0:120 offset1:130
	ds_store_b64 v59, v[20:21] offset:1120
	ds_store_2addr_b64 v48, v[6:7], v[18:19] offset0:100 offset1:110
	ds_store_2addr_b64 v48, v[42:43], v[30:31] offset0:120 offset1:130
	ds_store_b64 v48, v[40:41] offset:1120
	s_waitcnt lgkmcnt(0)
	s_barrier
	buffer_gl0_inv
	ds_load_b64 v[152:153], v191
	ds_load_2addr_b64 v[8:11], v195 offset0:50 offset1:55
	ds_load_2addr_b64 v[12:15], v195 offset0:100 offset1:105
	ds_load_b64 v[251:252], v196
	ds_load_2addr_b64 v[0:3], v195 offset0:60 offset1:65
	ds_load_2addr_b64 v[4:7], v195 offset0:110 offset1:115
	ds_load_2addr_b64 v[20:23], v195 offset0:70 offset1:75
	ds_load_2addr_b64 v[16:19], v195 offset0:120 offset1:125
	ds_load_b64 v[150:151], v166
	ds_load_b64 v[249:250], v167
	;; [unrolled: 1-line block ×5, first 2 shown]
	ds_load_2addr_b64 v[28:31], v195 offset0:80 offset1:85
	ds_load_2addr_b64 v[24:27], v195 offset0:130 offset1:135
	ds_load_b64 v[164:165], v199
	ds_load_b64 v[162:163], v198
	;; [unrolled: 1-line block ×3, first 2 shown]
	ds_load_2addr_b64 v[36:39], v195 offset0:90 offset1:95
	ds_load_2addr_b64 v[32:35], v195 offset0:140 offset1:145
	v_fma_f64 v[99:100], v[86:87], s[16:17], v[204:205]
	v_fma_f64 v[86:87], v[86:87], s[16:17], v[146:147]
	s_waitcnt lgkmcnt(0)
	s_barrier
	buffer_gl0_inv
	ds_store_2addr_b64 v195, v[70:71], v[78:79] offset1:10
	ds_store_2addr_b64 v195, v[84:85], v[64:65] offset0:20 offset1:30
	ds_store_b64 v195, v[68:69] offset:320
	ds_store_2addr_b64 v193, v[76:77], v[113:114] offset1:10
	ds_store_2addr_b64 v193, v[232:233], v[109:110] offset0:20 offset1:30
	ds_store_b64 v193, v[137:138] offset:320
	ds_store_2addr_b64 v195, v[94:95], v[103:104] offset0:50 offset1:60
	ds_store_b64 v195, v[105:106] offset:560
	ds_store_b64 v58, v[54:55]
	ds_store_b64 v195, v[52:53] offset:720
	ds_store_2addr_b64 v193, v[60:61], v[44:45] offset0:50 offset1:60
	ds_store_2addr_b64 v193, v[80:81], v[50:51] offset0:70 offset1:80
	ds_store_b64 v193, v[46:47] offset:720
	ds_store_2addr_b64 v59, v[97:98], v[99:100] offset0:100 offset1:110
	ds_store_2addr_b64 v59, v[101:102], v[107:108] offset0:120 offset1:130
	;; [unrolled: 3-line block ×3, first 2 shown]
	ds_store_b64 v48, v[133:134] offset:1120
	s_waitcnt lgkmcnt(0)
	s_barrier
	buffer_gl0_inv
	s_and_saveexec_b32 s0, vcc_lo
	s_cbranch_execz .LBB0_14
; %bb.13:
	v_mad_u64_u32 v[202:203], null, s8, v189, 0
	v_lshlrev_b32_e32 v95, 1, v130
	v_mad_u64_u32 v[200:201], null, s8, v176, 0
	v_mad_u64_u32 v[204:205], null, s8, v182, 0
	;; [unrolled: 1-line block ×3, first 2 shown]
	v_mov_b32_e32 v184, v203
	v_lshlrev_b64 v[40:41], 4, v[95:96]
	v_lshlrev_b32_e32 v95, 1, v129
	v_dual_mov_b32 v183, v201 :: v_dual_add_nc_u32 v146, 0x64, v176
	v_dual_mov_b32 v201, v205 :: v_dual_add_nc_u32 v148, 0x73, v176
	s_delay_alu instid0(VALU_DEP_4) | instskip(SKIP_2) | instid1(VALU_DEP_4)
	v_add_co_u32 v40, vcc_lo, s4, v40
	v_mad_u64_u32 v[230:231], null, s9, v189, v[184:185]
	v_add_co_ci_u32_e32 v41, vcc_lo, s5, v41, vcc_lo
	v_mad_u64_u32 v[231:232], null, s9, v182, v[201:202]
	v_mov_b32_e32 v182, v219
	v_lshlrev_b64 v[42:43], 4, v[95:96]
	global_load_b128 v[52:55], v[40:41], off offset:640
	v_mul_hi_u32 v147, 0x51eb851f, v178
	v_mul_hi_u32 v149, 0x51eb851f, v177
	v_mad_u64_u32 v[206:207], null, s8, v190, 0
	v_add_co_u32 v42, vcc_lo, s4, v42
	v_add_co_ci_u32_e32 v43, vcc_lo, s5, v43, vcc_lo
	s_clause 0x2
	global_load_b128 v[48:51], v[42:43], off offset:640
	global_load_b128 v[44:47], v[40:41], off offset:656
	global_load_b128 v[40:43], v[42:43], off offset:656
	v_mad_u64_u32 v[210:211], null, s8, v179, 0
	v_mad_u64_u32 v[208:209], null, s8, v187, 0
	;; [unrolled: 1-line block ×4, first 2 shown]
	v_lshrrev_b32_e32 v147, 4, v147
	v_mad_u64_u32 v[216:217], null, s8, v181, 0
	v_lshrrev_b32_e32 v149, 4, v149
	v_mad_u64_u32 v[220:221], null, s8, v180, 0
	v_mad_u64_u32 v[222:223], null, s8, v186, 0
	v_mad_u32_u24 v147, 0x64, v147, v178
	v_mov_b32_e32 v203, v207
	v_mad_u64_u32 v[224:225], null, s8, v171, 0
	v_mad_u32_u24 v149, 0x64, v149, v177
	v_mov_b32_e32 v207, v211
	v_dual_mov_b32 v184, v221 :: v_dual_lshlrev_b32 v95, 1, v128
	v_mov_b32_e32 v205, v209
	v_mov_b32_e32 v209, v213
	;; [unrolled: 1-line block ×4, first 2 shown]
	v_mad_u64_u32 v[232:233], null, s9, v190, v[203:204]
	v_mad_u64_u32 v[226:227], null, s8, v146, 0
	v_dual_mov_b32 v255, v170 :: v_dual_add_nc_u32 v170, 50, v149
	v_mad_u64_u32 v[233:234], null, s9, v179, v[207:208]
	v_lshlrev_b64 v[56:57], 4, v[95:96]
	v_mad_u64_u32 v[228:229], null, s8, v148, 0
	v_mad_u64_u32 v[234:235], null, s9, v185, v[209:210]
	v_mov_b32_e32 v179, v223
	v_mad_u64_u32 v[235:236], null, s9, v188, v[211:212]
	v_mad_u64_u32 v[236:237], null, s9, v181, v[213:214]
	v_mov_b32_e32 v181, v225
	v_mad_u64_u32 v[237:238], null, s9, v173, v[182:183]
	v_mad_u64_u32 v[238:239], null, s9, v180, v[184:185]
	v_add_co_u32 v64, vcc_lo, s4, v56
	v_mad_u64_u32 v[239:240], null, s9, v186, v[179:180]
	v_mad_u64_u32 v[240:241], null, s9, v171, v[181:182]
	v_mov_b32_e32 v171, v227
	v_add_co_ci_u32_e32 v65, vcc_lo, s5, v57, vcc_lo
	v_mov_b32_e32 v173, v229
	v_mov_b32_e32 v203, v230
	s_delay_alu instid0(VALU_DEP_4)
	v_mad_u64_u32 v[241:242], null, s9, v146, v[171:172]
	s_clause 0x1
	global_load_b128 v[60:63], v[64:65], off offset:640
	global_load_b128 v[116:119], v[64:65], off offset:656
	v_mad_u64_u32 v[242:243], null, s9, v148, v[173:174]
	v_add_nc_u32_e32 v148, 0x64, v147
	v_mad_u64_u32 v[189:190], null, s9, v187, v[205:206]
	v_mov_b32_e32 v205, v231
	v_mad_u64_u32 v[230:231], null, s8, v147, 0
	v_lshlrev_b32_e32 v95, 1, v127
	v_dual_mov_b32 v217, v236 :: v_dual_add_nc_u32 v146, 50, v147
	v_mov_b32_e32 v219, v237
	v_mov_b32_e32 v225, v240
	s_delay_alu instid0(VALU_DEP_4) | instskip(NEXT) | instid1(VALU_DEP_4)
	v_lshlrev_b64 v[58:59], 4, v[95:96]
	v_mad_u64_u32 v[236:237], null, s8, v146, 0
	v_lshlrev_b32_e32 v95, 1, v126
	v_mov_b32_e32 v227, v241
	v_mad_u64_u32 v[240:241], null, s8, v170, 0
	v_add_co_u32 v66, vcc_lo, s4, v58
	v_add_co_ci_u32_e32 v67, vcc_lo, s5, v59, vcc_lo
	v_lshlrev_b64 v[68:69], 4, v[95:96]
	v_mov_b32_e32 v209, v189
	v_mov_b32_e32 v213, v234
	s_clause 0x1
	global_load_b128 v[56:59], v[66:67], off offset:640
	global_load_b128 v[112:115], v[66:67], off offset:656
	v_lshlrev_b32_e32 v95, 1, v125
	v_add_co_u32 v68, vcc_lo, s4, v68
	v_add_co_ci_u32_e32 v69, vcc_lo, s5, v69, vcc_lo
	s_delay_alu instid0(VALU_DEP_3)
	v_lshlrev_b64 v[64:65], 4, v[95:96]
	v_lshlrev_b32_e32 v95, 1, v124
	v_mov_b32_e32 v215, v235
	v_mad_u64_u32 v[184:185], null, s9, v176, v[183:184]
	v_mov_b32_e32 v207, v232
	v_add_co_u32 v80, vcc_lo, s4, v64
	v_add_co_ci_u32_e32 v81, vcc_lo, s5, v65, vcc_lo
	s_clause 0x1
	global_load_b128 v[72:75], v[68:69], off offset:640
	global_load_b128 v[64:67], v[68:69], off offset:656
	v_lshlrev_b64 v[70:71], 4, v[95:96]
	v_lshlrev_b32_e32 v95, 1, v123
	v_mov_b32_e32 v201, v184
	v_mov_b32_e32 v211, v233
	v_mad_u64_u32 v[232:233], null, s8, v149, 0
	s_delay_alu instid0(VALU_DEP_4) | instskip(SKIP_3) | instid1(VALU_DEP_3)
	v_lshlrev_b64 v[82:83], 4, v[95:96]
	v_lshlrev_b32_e32 v95, 1, v122
	v_add_co_u32 v88, vcc_lo, s4, v70
	v_add_co_ci_u32_e32 v89, vcc_lo, s5, v71, vcc_lo
	v_lshlrev_b64 v[90:91], 4, v[95:96]
	v_lshlrev_b32_e32 v95, 1, v176
	v_add_co_u32 v97, vcc_lo, s4, v82
	v_add_co_ci_u32_e32 v98, vcc_lo, s5, v83, vcc_lo
	s_delay_alu instid0(VALU_DEP_3)
	v_lshlrev_b64 v[99:100], 4, v[95:96]
	v_add_co_u32 v101, vcc_lo, s4, v90
	v_add_co_ci_u32_e32 v102, vcc_lo, s5, v91, vcc_lo
	s_clause 0x1
	global_load_b128 v[76:79], v[80:81], off offset:640
	global_load_b128 v[68:71], v[80:81], off offset:656
	v_add_co_u32 v108, vcc_lo, s4, v99
	v_add_co_ci_u32_e32 v109, vcc_lo, s5, v100, vcc_lo
	s_clause 0x7
	global_load_b128 v[84:87], v[88:89], off offset:640
	global_load_b128 v[80:83], v[88:89], off offset:656
	;; [unrolled: 1-line block ×8, first 2 shown]
	ds_load_2addr_b64 v[140:143], v195 offset0:90 offset1:95
	ds_load_2addr_b64 v[136:139], v195 offset0:140 offset1:145
	v_lshlrev_b64 v[200:201], 4, v[200:201]
	v_add_co_u32 v144, vcc_lo, s10, v144
	v_add_co_ci_u32_e32 v145, vcc_lo, s11, v145, vcc_lo
	v_lshlrev_b64 v[202:203], 4, v[202:203]
	v_lshlrev_b64 v[204:205], 4, v[204:205]
	s_delay_alu instid0(VALU_DEP_4)
	v_add_co_u32 v200, vcc_lo, v144, v200
	v_mov_b32_e32 v229, v242
	v_add_co_ci_u32_e32 v201, vcc_lo, v145, v201, vcc_lo
	v_lshlrev_b64 v[206:207], 4, v[206:207]
	v_add_co_u32 v202, vcc_lo, v144, v202
	v_add_co_ci_u32_e32 v203, vcc_lo, v145, v203, vcc_lo
	v_lshlrev_b64 v[208:209], 4, v[208:209]
	v_lshlrev_b64 v[210:211], 4, v[210:211]
	ds_load_2addr_b64 v[132:135], v195 offset0:80 offset1:85
	ds_load_2addr_b64 v[128:131], v195 offset0:130 offset1:135
	;; [unrolled: 1-line block ×4, first 2 shown]
	ds_load_b64 v[168:169], v167
	ds_load_b64 v[166:167], v166
	v_lshlrev_b64 v[212:213], 4, v[212:213]
	v_lshlrev_b64 v[214:215], 4, v[214:215]
	;; [unrolled: 1-line block ×3, first 2 shown]
	v_mov_b32_e32 v221, v238
	v_lshlrev_b64 v[218:219], 4, v[218:219]
	v_mov_b32_e32 v223, v239
	v_lshlrev_b64 v[224:225], 4, v[224:225]
	ds_load_2addr_b64 v[177:180], v195 offset0:60 offset1:65
	v_lshlrev_b64 v[220:221], 4, v[220:221]
	ds_load_2addr_b64 v[181:184], v195 offset0:50 offset1:55
	;; [unrolled: 2-line block ×3, first 2 shown]
	v_mad_u64_u32 v[238:239], null, s8, v148, 0
	s_mov_b32 s0, 0xe8584caa
	s_mov_b32 s1, 0x3febb67a
	;; [unrolled: 1-line block ×4, first 2 shown]
	s_delay_alu instid0(VALU_DEP_1)
	v_mov_b32_e32 v171, v239
	s_waitcnt vmcnt(19) lgkmcnt(10)
	v_mul_f64 v[189:190], v[142:143], v[54:55]
	v_mul_f64 v[54:55], v[38:39], v[54:55]
	s_waitcnt vmcnt(18)
	v_mul_f64 v[234:235], v[140:141], v[50:51]
	v_mul_f64 v[50:51], v[36:37], v[50:51]
	s_delay_alu instid0(VALU_DEP_4) | instskip(NEXT) | instid1(VALU_DEP_4)
	v_fma_f64 v[38:39], v[38:39], v[52:53], -v[189:190]
	v_fma_f64 v[52:53], v[52:53], v[142:143], v[54:55]
	v_dual_mov_b32 v54, v231 :: v_dual_mov_b32 v55, v233
	v_lshlrev_b64 v[142:143], 4, v[226:227]
	v_lshlrev_b64 v[189:190], 4, v[228:229]
	s_delay_alu instid0(VALU_DEP_3)
	v_mad_u64_u32 v[226:227], null, s9, v147, v[54:55]
	s_waitcnt vmcnt(17) lgkmcnt(9)
	v_mul_f64 v[227:228], v[138:139], v[46:47]
	v_fma_f64 v[36:37], v[36:37], v[48:49], -v[234:235]
	v_mul_f64 v[46:47], v[34:35], v[46:47]
	v_fma_f64 v[48:49], v[48:49], v[140:141], v[50:51]
	v_add_co_u32 v140, vcc_lo, v144, v204
	v_add_co_ci_u32_e32 v141, vcc_lo, v145, v205, vcc_lo
	v_add_co_u32 v204, vcc_lo, v144, v206
	v_add_co_ci_u32_e32 v205, vcc_lo, v145, v207, vcc_lo
	;; [unrolled: 2-line block ×5, first 2 shown]
	s_waitcnt vmcnt(16)
	v_mul_f64 v[50:51], v[136:137], v[42:43]
	v_add_co_u32 v212, vcc_lo, v144, v214
	v_add_co_ci_u32_e32 v213, vcc_lo, v145, v215, vcc_lo
	v_mul_f64 v[42:43], v[32:33], v[42:43]
	v_add_co_u32 v214, vcc_lo, v144, v216
	v_add_co_ci_u32_e32 v215, vcc_lo, v145, v217, vcc_lo
	s_waitcnt vmcnt(15) lgkmcnt(8)
	v_mul_f64 v[216:217], v[134:135], v[62:63]
	v_mul_f64 v[62:63], v[30:31], v[62:63]
	v_dual_mov_b32 v54, v237 :: v_dual_mov_b32 v231, v226
	v_fma_f64 v[34:35], v[34:35], v[44:45], -v[227:228]
	v_fma_f64 v[44:45], v[44:45], v[138:139], v[46:47]
	v_add_co_u32 v138, vcc_lo, v144, v218
	v_add_co_ci_u32_e32 v139, vcc_lo, v145, v219, vcc_lo
	v_add_co_u32 v218, vcc_lo, v144, v220
	v_add_co_ci_u32_e32 v219, vcc_lo, v145, v221, vcc_lo
	;; [unrolled: 2-line block ×3, first 2 shown]
	s_waitcnt vmcnt(13)
	v_mul_f64 v[46:47], v[132:133], v[58:59]
	v_mad_u64_u32 v[222:223], null, s9, v149, v[55:56]
	v_fma_f64 v[32:33], v[32:33], v[40:41], -v[50:51]
	v_mul_f64 v[50:51], v[28:29], v[58:59]
	v_mov_b32_e32 v58, v241
	v_fma_f64 v[40:41], v[40:41], v[136:137], v[42:43]
	v_add_co_u32 v136, vcc_lo, v144, v224
	v_mad_u64_u32 v[223:224], null, s9, v146, v[54:55]
	s_waitcnt lgkmcnt(7)
	v_mul_f64 v[42:43], v[130:131], v[118:119]
	v_mul_f64 v[118:119], v[26:27], v[118:119]
	v_add_co_ci_u32_e32 v137, vcc_lo, v145, v225, vcc_lo
	s_waitcnt vmcnt(12)
	v_mul_f64 v[224:225], v[128:129], v[114:115]
	v_mad_u64_u32 v[227:228], null, s9, v170, v[58:59]
	v_mul_f64 v[58:59], v[24:25], v[114:115]
	s_waitcnt vmcnt(11)
	v_mul_f64 v[114:115], v[22:23], v[74:75]
	v_fma_f64 v[216:217], v[30:31], v[60:61], -v[216:217]
	v_fma_f64 v[60:61], v[60:61], v[134:135], v[62:63]
	s_waitcnt vmcnt(10)
	v_mul_f64 v[62:63], v[18:19], v[66:67]
	v_mad_u64_u32 v[54:55], null, s9, v148, v[171:172]
	s_waitcnt lgkmcnt(6)
	v_mul_f64 v[74:75], v[126:127], v[74:75]
	v_mov_b32_e32 v233, v222
	v_mov_b32_e32 v237, v223
	v_add_co_u32 v142, vcc_lo, v144, v142
	v_add_co_ci_u32_e32 v143, vcc_lo, v145, v143, vcc_lo
	v_mov_b32_e32 v239, v54
	v_add_co_u32 v189, vcc_lo, v144, v189
	v_fma_f64 v[46:47], v[28:29], v[56:57], -v[46:47]
	ds_load_2addr_b64 v[28:31], v195 offset0:100 offset1:105
	s_waitcnt vmcnt(9)
	v_mul_f64 v[134:135], v[20:21], v[78:79]
	s_waitcnt vmcnt(8)
	v_mul_f64 v[228:229], v[16:17], v[70:71]
	v_add_co_ci_u32_e32 v190, vcc_lo, v145, v190, vcc_lo
	v_fma_f64 v[50:51], v[56:57], v[132:133], v[50:51]
	s_waitcnt vmcnt(7)
	v_mul_f64 v[234:235], v[2:3], v[86:87]
	s_waitcnt vmcnt(5)
	v_mul_f64 v[55:56], v[0:1], v[94:95]
	v_mul_f64 v[132:133], v[6:7], v[82:83]
	s_waitcnt vmcnt(4)
	v_mul_f64 v[241:242], v[4:5], v[90:91]
	s_waitcnt vmcnt(2)
	v_mul_f64 v[245:246], v[8:9], v[106:107]
	s_waitcnt lgkmcnt(2)
	v_mul_f64 v[106:107], v[181:182], v[106:107]
	s_waitcnt lgkmcnt(1)
	v_mul_f64 v[90:91], v[185:186], v[90:91]
	v_fma_f64 v[247:248], v[26:27], v[116:117], -v[42:43]
	v_fma_f64 v[116:117], v[116:117], v[130:131], v[118:119]
	ds_load_b64 v[26:27], v199
	ds_load_b64 v[42:43], v198
	;; [unrolled: 1-line block ×4, first 2 shown]
	v_mul_f64 v[243:244], v[10:11], v[98:99]
	v_fma_f64 v[195:196], v[24:25], v[112:113], -v[224:225]
	v_mul_f64 v[24:25], v[122:123], v[66:67]
	v_mul_f64 v[66:67], v[124:125], v[78:79]
	v_fma_f64 v[112:113], v[112:113], v[128:129], v[58:59]
	v_mul_f64 v[57:58], v[120:121], v[70:71]
	v_mul_f64 v[70:71], v[179:180], v[86:87]
	;; [unrolled: 1-line block ×4, first 2 shown]
	v_fma_f64 v[86:87], v[72:73], v[126:127], v[114:115]
	s_waitcnt vmcnt(1)
	v_mul_f64 v[114:115], v[14:15], v[102:103]
	v_fma_f64 v[62:63], v[64:65], v[122:123], v[62:63]
	s_waitcnt vmcnt(0)
	v_mul_f64 v[122:123], v[12:13], v[110:111]
	s_waitcnt lgkmcnt(4)
	v_mul_f64 v[110:111], v[28:29], v[110:111]
	v_mul_f64 v[102:103], v[30:31], v[102:103]
	;; [unrolled: 1-line block ×3, first 2 shown]
	v_add_nc_u32_e32 v199, 0x64, v149
	v_lshlrev_b64 v[197:198], 4, v[238:239]
	v_fma_f64 v[94:95], v[76:77], v[124:125], v[134:135]
	v_fma_f64 v[120:121], v[68:69], v[120:121], v[228:229]
	;; [unrolled: 1-line block ×7, first 2 shown]
	v_mov_b32_e32 v246, v172
	v_fma_f64 v[8:9], v[8:9], v[104:105], -v[106:107]
	v_add_f64 v[106:107], v[154:155], v[46:47]
	v_mov_b32_e32 v241, v227
	v_lshlrev_b64 v[187:188], 4, v[230:231]
	v_fma_f64 v[134:135], v[96:97], v[183:184], v[243:244]
	ds_load_b64 v[179:180], v194
	ds_load_b64 v[181:182], v193
	;; [unrolled: 1-line block ×4, first 2 shown]
	v_lshlrev_b64 v[191:192], 4, v[232:233]
	v_lshlrev_b64 v[193:194], 4, v[236:237]
	v_mad_u64_u32 v[132:133], null, s8, v199, 0
	v_fma_f64 v[2:3], v[2:3], v[84:85], -v[70:71]
	v_fma_f64 v[16:17], v[16:17], v[68:69], -v[57:58]
	v_fma_f64 v[0:1], v[0:1], v[92:93], -v[82:83]
	v_add_f64 v[92:93], v[52:53], -v[44:45]
	v_fma_f64 v[30:31], v[100:101], v[30:31], v[114:115]
	s_waitcnt lgkmcnt(5)
	v_add_f64 v[57:58], v[48:49], v[118:119]
	v_fma_f64 v[28:29], v[108:109], v[28:29], v[122:123]
	v_fma_f64 v[104:105], v[12:13], v[108:109], -v[110:111]
	v_fma_f64 v[12:13], v[22:23], v[72:73], -v[74:75]
	;; [unrolled: 1-line block ×8, first 2 shown]
	v_add_f64 v[88:89], v[38:39], -v[34:35]
	v_add_f64 v[6:7], v[52:53], v[44:45]
	v_add_f64 v[18:19], v[52:53], v[26:27]
	;; [unrolled: 1-line block ×4, first 2 shown]
	v_add_f64 v[122:123], v[46:47], -v[195:196]
	v_add_f64 v[70:71], v[94:95], v[120:121]
	v_add_f64 v[102:103], v[46:47], v[195:196]
	;; [unrolled: 1-line block ×5, first 2 shown]
	v_add_f64 v[100:101], v[48:49], -v[40:41]
	v_add_f64 v[48:49], v[60:61], v[116:117]
	s_waitcnt lgkmcnt(3)
	v_add_f64 v[80:81], v[60:61], v[179:180]
	v_add_f64 v[114:115], v[60:61], -v[116:117]
	v_add_f64 v[59:60], v[86:87], v[62:63]
	v_add_f64 v[108:109], v[216:217], -v[247:248]
	v_add_f64 v[66:67], v[216:217], v[247:248]
	v_add_f64 v[84:85], v[156:157], v[216:217]
	;; [unrolled: 1-line block ×3, first 2 shown]
	s_waitcnt lgkmcnt(1)
	v_add_f64 v[90:91], v[50:51], v[183:184]
	v_add_f64 v[216:217], v[50:51], -v[112:113]
	v_add_f64 v[96:97], v[36:37], -v[32:33]
	v_add_f64 v[64:65], v[36:37], v[32:33]
	v_add_f64 v[36:37], v[160:161], v[36:37]
	;; [unrolled: 1-line block ×8, first 2 shown]
	v_add_f64 v[253:254], v[55:56], -v[128:129]
	v_add_f64 v[54:55], v[134:135], v[181:182]
	v_add_f64 v[224:225], v[12:13], v[14:15]
	;; [unrolled: 1-line block ×7, first 2 shown]
	v_add_f64 v[234:235], v[4:5], -v[16:17]
	v_dual_mov_b32 v4, v251 :: v_dual_mov_b32 v5, v252
	s_waitcnt lgkmcnt(0)
	v_add_f64 v[146:147], v[177:178], v[185:186]
	v_add_f64 v[148:149], v[8:9], -v[104:105]
	v_fma_f64 v[166:167], v[70:71], -0.5, v[166:167]
	v_add_f64 v[110:111], v[12:13], -v[14:15]
	v_add_f64 v[12:13], v[249:250], v[12:13]
	v_fma_f64 v[70:71], v[74:75], -0.5, v[42:43]
	v_fma_f64 v[74:75], v[76:77], -0.5, v[130:131]
	;; [unrolled: 1-line block ×3, first 2 shown]
	v_add_f64 v[6:7], v[44:45], v[18:19]
	v_add_f64 v[238:239], v[162:163], v[2:3]
	v_add_f64 v[242:243], v[2:3], -v[20:21]
	v_fma_f64 v[168:169], v[59:60], -0.5, v[168:169]
	v_add_f64 v[59:60], v[152:153], v[8:9]
	v_dual_mov_b32 v3, v176 :: v_dual_mov_b32 v176, v174
	v_mov_b32_e32 v2, v175
	v_add_f64 v[174:175], v[251:252], v[0:1]
	v_add_f64 v[170:171], v[158:159], v[10:11]
	v_add_f64 v[172:173], v[10:11], -v[72:73]
	v_add_f64 v[134:135], v[134:135], -v[30:31]
	v_add_f64 v[251:252], v[0:1], -v[24:25]
	v_add_f64 v[236:237], v[124:125], v[42:43]
	v_add_f64 v[124:125], v[124:125], -v[126:127]
	v_fma_f64 v[76:77], v[78:79], -0.5, v[181:182]
	v_add_f64 v[94:95], v[94:95], -v[120:121]
	v_fma_f64 v[78:79], v[82:83], -0.5, v[185:186]
	;; [unrolled: 2-line block ×3, first 2 shown]
	v_add_f64 v[86:87], v[86:87], -v[62:63]
	v_add_f64 v[26:27], v[30:31], v[54:55]
	v_fma_f64 v[44:45], v[46:47], -0.5, v[4:5]
	v_add_f64 v[4:5], v[38:39], v[34:35]
	v_fma_f64 v[152:153], v[50:51], -0.5, v[158:159]
	v_fma_f64 v[162:163], v[226:227], -0.5, v[162:163]
	;; [unrolled: 1-line block ×4, first 2 shown]
	v_add_f64 v[10:11], v[62:63], v[222:223]
	v_fma_f64 v[158:159], v[22:23], -0.5, v[164:165]
	v_add_f64 v[30:31], v[146:147], v[28:29]
	v_fma_f64 v[164:165], v[48:49], -0.5, v[179:180]
	;; [unrolled: 2-line block ×3, first 2 shown]
	v_add_f64 v[8:9], v[12:13], v[14:15]
	v_add_f64 v[12:13], v[232:233], v[16:17]
	v_fma_f64 v[156:157], v[66:67], -0.5, v[156:157]
	v_fma_f64 v[177:178], v[68:69], -0.5, v[183:184]
	v_add_f64 v[14:15], v[120:121], v[230:231]
	v_add_f64 v[16:17], v[238:239], v[20:21]
	v_fma_f64 v[42:43], v[242:243], s[0:1], v[70:71]
	v_fma_f64 v[70:71], v[242:243], s[2:3], v[70:71]
	v_add_f64 v[28:29], v[59:60], v[104:105]
	v_fma_f64 v[38:39], v[234:235], s[0:1], v[166:167]
	v_fma_f64 v[34:35], v[110:111], s[0:1], v[168:169]
	v_add_co_u32 v187, vcc_lo, v144, v187
	v_add_f64 v[20:21], v[174:175], v[24:25]
	v_add_f64 v[24:25], v[170:171], v[72:73]
	v_add_co_ci_u32_e32 v188, vcc_lo, v145, v188, vcc_lo
	v_fma_f64 v[66:67], v[251:252], s[2:3], v[74:75]
	v_fma_f64 v[46:47], v[251:252], s[0:1], v[74:75]
	;; [unrolled: 1-line block ×5, first 2 shown]
	v_add_f64 v[18:19], v[126:127], v[236:237]
	v_fma_f64 v[52:53], v[82:83], s[2:3], v[98:99]
	v_fma_f64 v[74:75], v[234:235], s[2:3], v[166:167]
	v_add_co_u32 v193, vcc_lo, v144, v193
	scratch_store_b128 off, v[4:7], off offset:8 ; 16-byte Folded Spill
	v_add_f64 v[4:5], v[36:37], v[32:33]
	v_fma_f64 v[32:33], v[224:225], -0.5, v[249:250]
	v_add_f64 v[6:7], v[40:41], v[57:58]
	v_fma_f64 v[58:59], v[148:149], s[2:3], v[78:79]
	v_fma_f64 v[56:57], v[82:83], s[0:1], v[98:99]
	;; [unrolled: 1-line block ×11, first 2 shown]
	v_add_co_ci_u32_e32 v194, vcc_lo, v145, v194, vcc_lo
	v_add_co_u32 v197, vcc_lo, v144, v197
	v_add_co_ci_u32_e32 v198, vcc_lo, v145, v198, vcc_lo
	v_fma_f64 v[154:155], v[102:103], -0.5, v[154:155]
	v_add_f64 v[82:83], v[116:117], v[80:81]
	v_add_f64 v[80:81], v[84:85], v[247:248]
	;; [unrolled: 1-line block ×3, first 2 shown]
	v_fma_f64 v[98:99], v[96:97], s[0:1], v[118:119]
	v_fma_f64 v[102:103], v[96:97], s[2:3], v[118:119]
	;; [unrolled: 1-line block ×13, first 2 shown]
	s_clause 0x11
	global_store_b128 v[200:201], v[28:31], off
	global_store_b128 v[202:203], v[56:59], off
	;; [unrolled: 1-line block ×18, first 2 shown]
	scratch_load_b32 v25, off, off offset:4 ; 4-byte Folded Reload
	v_add_f64 v[86:87], v[112:113], v[90:91]
	v_fma_f64 v[112:113], v[216:217], s[2:3], v[154:155]
	v_fma_f64 v[116:117], v[216:217], s[0:1], v[154:155]
	v_mad_u64_u32 v[8:9], null, s9, v199, v[133:134]
	v_mad_u64_u32 v[9:10], null, s8, v2, 0
	v_add_nc_u32_e32 v24, 0x55, v3
	v_lshlrev_b64 v[13:14], 4, v[240:241]
	v_add_co_u32 v11, vcc_lo, v144, v191
	v_mov_b32_e32 v133, v8
	s_delay_alu instid0(VALU_DEP_4) | instskip(SKIP_2) | instid1(VALU_DEP_4)
	v_mad_u64_u32 v[15:16], null, s8, v24, 0
	v_mov_b32_e32 v8, v10
	v_add_co_ci_u32_e32 v12, vcc_lo, v145, v192, vcc_lo
	v_lshlrev_b64 v[19:20], 4, v[132:133]
	v_add_co_u32 v13, vcc_lo, v144, v13
	s_delay_alu instid0(VALU_DEP_4)
	v_mad_u64_u32 v[21:22], null, s9, v2, v[8:9]
	v_mov_b32_e32 v10, v16
	v_add_co_ci_u32_e32 v14, vcc_lo, v145, v14, vcc_lo
	s_clause 0x1
	global_store_b128 v[11:12], v[84:87], off
	global_store_b128 v[13:14], v[116:119], off
	v_mad_u64_u32 v[22:23], null, s9, v24, v[10:11]
	v_mov_b32_e32 v10, v21
	v_mad_u64_u32 v[23:24], null, s8, v176, 0
	v_fma_f64 v[90:91], v[88:89], s[0:1], v[130:131]
	v_fma_f64 v[88:89], v[92:93], s[2:3], v[158:159]
	;; [unrolled: 1-line block ×3, first 2 shown]
	v_mov_b32_e32 v16, v22
	v_mov_b32_e32 v12, v24
	s_waitcnt vmcnt(0)
	v_mad_u64_u32 v[17:18], null, s8, v25, 0
	s_delay_alu instid0(VALU_DEP_1) | instskip(SKIP_2) | instid1(VALU_DEP_3)
	v_mov_b32_e32 v8, v18
	v_add_co_u32 v18, vcc_lo, v144, v19
	v_add_co_ci_u32_e32 v19, vcc_lo, v145, v20, vcc_lo
	v_mad_u64_u32 v[20:21], null, s9, v25, v[8:9]
	v_lshlrev_b64 v[8:9], 4, v[9:10]
	global_store_b128 v[18:19], v[112:115], off
	v_lshlrev_b64 v[10:11], 4, v[15:16]
	v_mov_b32_e32 v18, v20
	scratch_load_b32 v20, off, off          ; 4-byte Folded Reload
	v_add_co_u32 v8, vcc_lo, v144, v8
	v_add_co_ci_u32_e32 v9, vcc_lo, v145, v9, vcc_lo
	v_lshlrev_b64 v[13:14], 4, v[17:18]
	v_add_co_u32 v10, vcc_lo, v144, v10
	v_add_co_ci_u32_e32 v11, vcc_lo, v145, v11, vcc_lo
	s_delay_alu instid0(VALU_DEP_3)
	v_mad_u64_u32 v[15:16], null, s9, v176, v[12:13]
	v_mul_hi_u32 v16, 0x51eb851f, v255
	v_add_co_u32 v12, vcc_lo, v144, v13
	v_add_co_ci_u32_e32 v13, vcc_lo, v145, v14, vcc_lo
	s_clause 0x2
	global_store_b128 v[8:9], v[80:83], off
	global_store_b128 v[10:11], v[108:111], off
	;; [unrolled: 1-line block ×3, first 2 shown]
	v_mov_b32_e32 v24, v15
	v_lshrrev_b32_e32 v16, 4, v16
	v_mad_u64_u32 v[10:11], null, s8, v246, 0
	s_delay_alu instid0(VALU_DEP_3) | instskip(NEXT) | instid1(VALU_DEP_3)
	v_lshlrev_b64 v[8:9], 4, v[23:24]
	v_mad_u32_u24 v23, 0x64, v16, v255
	s_delay_alu instid0(VALU_DEP_1) | instskip(SKIP_1) | instid1(VALU_DEP_4)
	v_add_nc_u32_e32 v24, 50, v23
	v_mad_u64_u32 v[16:17], null, s8, v23, 0
	v_add_co_u32 v8, vcc_lo, v144, v8
	v_add_co_ci_u32_e32 v9, vcc_lo, v145, v9, vcc_lo
	global_store_b128 v[8:9], v[4:7], off
	s_waitcnt vmcnt(0)
	v_mad_u64_u32 v[14:15], null, s8, v20, 0
	s_delay_alu instid0(VALU_DEP_1) | instskip(NEXT) | instid1(VALU_DEP_1)
	v_mov_b32_e32 v12, v15
	v_mad_u64_u32 v[18:19], null, s9, v20, v[12:13]
	v_mad_u64_u32 v[19:20], null, s8, v24, 0
	;; [unrolled: 1-line block ×3, first 2 shown]
	v_mov_b32_e32 v11, v17
	v_add_nc_u32_e32 v13, 0x64, v23
	s_delay_alu instid0(VALU_DEP_4) | instskip(NEXT) | instid1(VALU_DEP_3)
	v_dual_mov_b32 v15, v18 :: v_dual_mov_b32 v4, v20
	v_mad_u64_u32 v[21:22], null, s9, v23, v[11:12]
	s_delay_alu instid0(VALU_DEP_2) | instskip(SKIP_2) | instid1(VALU_DEP_3)
	v_lshlrev_b64 v[5:6], 4, v[14:15]
	v_mov_b32_e32 v11, v12
	v_mad_u64_u32 v[22:23], null, s8, v13, 0
	v_mad_u64_u32 v[7:8], null, s9, v24, v[4:5]
	s_delay_alu instid0(VALU_DEP_3)
	v_lshlrev_b64 v[8:9], 4, v[10:11]
	v_add_co_u32 v5, vcc_lo, v144, v5
	v_add_co_ci_u32_e32 v6, vcc_lo, v145, v6, vcc_lo
	v_mov_b32_e32 v4, v23
	v_mov_b32_e32 v20, v7
	v_add_co_u32 v7, vcc_lo, v144, v8
	v_add_co_ci_u32_e32 v8, vcc_lo, v145, v9, vcc_lo
	s_clause 0x1
	global_store_b128 v[5:6], v[100:103], off
	global_store_b128 v[7:8], v[96:99], off
	scratch_load_b128 v[0:3], off, off offset:8 ; 16-byte Folded Reload
	v_mov_b32_e32 v17, v21
	v_mad_u64_u32 v[10:11], null, s9, v13, v[4:5]
	v_lshlrev_b64 v[13:14], 4, v[19:20]
	s_delay_alu instid0(VALU_DEP_3) | instskip(NEXT) | instid1(VALU_DEP_3)
	v_lshlrev_b64 v[11:12], 4, v[16:17]
	v_mov_b32_e32 v23, v10
	s_delay_alu instid0(VALU_DEP_2) | instskip(NEXT) | instid1(VALU_DEP_3)
	v_add_co_u32 v9, vcc_lo, v144, v11
	v_add_co_ci_u32_e32 v10, vcc_lo, v145, v12, vcc_lo
	s_delay_alu instid0(VALU_DEP_3) | instskip(SKIP_2) | instid1(VALU_DEP_3)
	v_lshlrev_b64 v[11:12], 4, v[22:23]
	v_add_co_u32 v13, vcc_lo, v144, v13
	v_add_co_ci_u32_e32 v14, vcc_lo, v145, v14, vcc_lo
	v_add_co_u32 v11, vcc_lo, v144, v11
	s_delay_alu instid0(VALU_DEP_4)
	v_add_co_ci_u32_e32 v12, vcc_lo, v145, v12, vcc_lo
	s_waitcnt vmcnt(0)
	s_clause 0x2
	global_store_b128 v[9:10], v[0:3], off
	global_store_b128 v[13:14], v[92:95], off
	;; [unrolled: 1-line block ×3, first 2 shown]
.LBB0_14:
	s_endpgm
	.section	.rodata,"a",@progbits
	.p2align	6, 0x0
	.amdhsa_kernel fft_rtc_fwd_len150_factors_10_5_3_wgs_60_tpt_5_halfLds_dp_ip_CI_sbrr_dirReg
		.amdhsa_group_segment_fixed_size 0
		.amdhsa_private_segment_fixed_size 28
		.amdhsa_kernarg_size 88
		.amdhsa_user_sgpr_count 15
		.amdhsa_user_sgpr_dispatch_ptr 0
		.amdhsa_user_sgpr_queue_ptr 0
		.amdhsa_user_sgpr_kernarg_segment_ptr 1
		.amdhsa_user_sgpr_dispatch_id 0
		.amdhsa_user_sgpr_private_segment_size 0
		.amdhsa_wavefront_size32 1
		.amdhsa_uses_dynamic_stack 0
		.amdhsa_enable_private_segment 1
		.amdhsa_system_sgpr_workgroup_id_x 1
		.amdhsa_system_sgpr_workgroup_id_y 0
		.amdhsa_system_sgpr_workgroup_id_z 0
		.amdhsa_system_sgpr_workgroup_info 0
		.amdhsa_system_vgpr_workitem_id 0
		.amdhsa_next_free_vgpr 256
		.amdhsa_next_free_sgpr 23
		.amdhsa_reserve_vcc 1
		.amdhsa_float_round_mode_32 0
		.amdhsa_float_round_mode_16_64 0
		.amdhsa_float_denorm_mode_32 3
		.amdhsa_float_denorm_mode_16_64 3
		.amdhsa_dx10_clamp 1
		.amdhsa_ieee_mode 1
		.amdhsa_fp16_overflow 0
		.amdhsa_workgroup_processor_mode 1
		.amdhsa_memory_ordered 1
		.amdhsa_forward_progress 0
		.amdhsa_shared_vgpr_count 0
		.amdhsa_exception_fp_ieee_invalid_op 0
		.amdhsa_exception_fp_denorm_src 0
		.amdhsa_exception_fp_ieee_div_zero 0
		.amdhsa_exception_fp_ieee_overflow 0
		.amdhsa_exception_fp_ieee_underflow 0
		.amdhsa_exception_fp_ieee_inexact 0
		.amdhsa_exception_int_div_zero 0
	.end_amdhsa_kernel
	.text
.Lfunc_end0:
	.size	fft_rtc_fwd_len150_factors_10_5_3_wgs_60_tpt_5_halfLds_dp_ip_CI_sbrr_dirReg, .Lfunc_end0-fft_rtc_fwd_len150_factors_10_5_3_wgs_60_tpt_5_halfLds_dp_ip_CI_sbrr_dirReg
                                        ; -- End function
	.section	.AMDGPU.csdata,"",@progbits
; Kernel info:
; codeLenInByte = 16712
; NumSgprs: 25
; NumVgprs: 256
; ScratchSize: 28
; MemoryBound: 1
; FloatMode: 240
; IeeeMode: 1
; LDSByteSize: 0 bytes/workgroup (compile time only)
; SGPRBlocks: 3
; VGPRBlocks: 31
; NumSGPRsForWavesPerEU: 25
; NumVGPRsForWavesPerEU: 256
; Occupancy: 5
; WaveLimiterHint : 1
; COMPUTE_PGM_RSRC2:SCRATCH_EN: 1
; COMPUTE_PGM_RSRC2:USER_SGPR: 15
; COMPUTE_PGM_RSRC2:TRAP_HANDLER: 0
; COMPUTE_PGM_RSRC2:TGID_X_EN: 1
; COMPUTE_PGM_RSRC2:TGID_Y_EN: 0
; COMPUTE_PGM_RSRC2:TGID_Z_EN: 0
; COMPUTE_PGM_RSRC2:TIDIG_COMP_CNT: 0
	.text
	.p2alignl 7, 3214868480
	.fill 96, 4, 3214868480
	.type	__hip_cuid_6178418eebd4dd8e,@object ; @__hip_cuid_6178418eebd4dd8e
	.section	.bss,"aw",@nobits
	.globl	__hip_cuid_6178418eebd4dd8e
__hip_cuid_6178418eebd4dd8e:
	.byte	0                               ; 0x0
	.size	__hip_cuid_6178418eebd4dd8e, 1

	.ident	"AMD clang version 19.0.0git (https://github.com/RadeonOpenCompute/llvm-project roc-6.4.0 25133 c7fe45cf4b819c5991fe208aaa96edf142730f1d)"
	.section	".note.GNU-stack","",@progbits
	.addrsig
	.addrsig_sym __hip_cuid_6178418eebd4dd8e
	.amdgpu_metadata
---
amdhsa.kernels:
  - .args:
      - .actual_access:  read_only
        .address_space:  global
        .offset:         0
        .size:           8
        .value_kind:     global_buffer
      - .offset:         8
        .size:           8
        .value_kind:     by_value
      - .actual_access:  read_only
        .address_space:  global
        .offset:         16
        .size:           8
        .value_kind:     global_buffer
      - .actual_access:  read_only
        .address_space:  global
        .offset:         24
        .size:           8
        .value_kind:     global_buffer
      - .offset:         32
        .size:           8
        .value_kind:     by_value
      - .actual_access:  read_only
        .address_space:  global
        .offset:         40
        .size:           8
        .value_kind:     global_buffer
      - .actual_access:  read_only
        .address_space:  global
        .offset:         48
        .size:           8
        .value_kind:     global_buffer
      - .offset:         56
        .size:           4
        .value_kind:     by_value
      - .actual_access:  read_only
        .address_space:  global
        .offset:         64
        .size:           8
        .value_kind:     global_buffer
      - .actual_access:  read_only
        .address_space:  global
        .offset:         72
        .size:           8
        .value_kind:     global_buffer
      - .address_space:  global
        .offset:         80
        .size:           8
        .value_kind:     global_buffer
    .group_segment_fixed_size: 0
    .kernarg_segment_align: 8
    .kernarg_segment_size: 88
    .language:       OpenCL C
    .language_version:
      - 2
      - 0
    .max_flat_workgroup_size: 60
    .name:           fft_rtc_fwd_len150_factors_10_5_3_wgs_60_tpt_5_halfLds_dp_ip_CI_sbrr_dirReg
    .private_segment_fixed_size: 28
    .sgpr_count:     25
    .sgpr_spill_count: 0
    .symbol:         fft_rtc_fwd_len150_factors_10_5_3_wgs_60_tpt_5_halfLds_dp_ip_CI_sbrr_dirReg.kd
    .uniform_work_group_size: 1
    .uses_dynamic_stack: false
    .vgpr_count:     256
    .vgpr_spill_count: 6
    .wavefront_size: 32
    .workgroup_processor_mode: 1
amdhsa.target:   amdgcn-amd-amdhsa--gfx1100
amdhsa.version:
  - 1
  - 2
...

	.end_amdgpu_metadata
